;; amdgpu-corpus repo=ROCm/rccl kind=compiled arch=gfx90a opt=O3
	.text
	.amdgcn_target "amdgcn-amd-amdhsa--gfx90a"
	.amdhsa_code_object_version 6
	.p2align	2                               ; -- Begin function _ZN12_GLOBAL__N_17runRingIj7FuncSumIjE7ProtoLLLi0ELi1ELi0EEEviiP15ncclDevWorkColl
	.type	_ZN12_GLOBAL__N_17runRingIj7FuncSumIjE7ProtoLLLi0ELi1ELi0EEEviiP15ncclDevWorkColl,@function
_ZN12_GLOBAL__N_17runRingIj7FuncSumIjE7ProtoLLLi0ELi1ELi0EEEviiP15ncclDevWorkColl: ; @_ZN12_GLOBAL__N_17runRingIj7FuncSumIjE7ProtoLLLi0ELi1ELi0EEEviiP15ncclDevWorkColl
; %bb.0:
	s_waitcnt vmcnt(0) expcnt(0) lgkmcnt(0)
	s_or_saveexec_b64 s[4:5], -1
	buffer_store_dword v63, off, s[0:3], s32 offset:84 ; 4-byte Folded Spill
	s_mov_b64 exec, s[4:5]
	buffer_store_dword v40, off, s[0:3], s32 offset:80 ; 4-byte Folded Spill
	buffer_store_dword v41, off, s[0:3], s32 offset:76 ; 4-byte Folded Spill
	;; [unrolled: 1-line block ×20, first 2 shown]
	buffer_store_dword a37, off, s[0:3], s32 ; 4-byte Folded Spill
	v_writelane_b32 v63, s34, 0
	v_writelane_b32 v63, s35, 1
	v_writelane_b32 v63, s36, 2
	v_writelane_b32 v63, s37, 3
	v_writelane_b32 v63, s38, 4
	v_writelane_b32 v63, s39, 5
	v_writelane_b32 v63, s40, 6
	v_writelane_b32 v63, s41, 7
	v_writelane_b32 v63, s42, 8
	v_writelane_b32 v63, s43, 9
	v_writelane_b32 v63, s44, 10
	v_writelane_b32 v63, s45, 11
	v_writelane_b32 v63, s46, 12
	v_writelane_b32 v63, s47, 13
	v_writelane_b32 v63, s48, 14
	v_writelane_b32 v63, s49, 15
	v_writelane_b32 v63, s50, 16
	v_writelane_b32 v63, s51, 17
	v_writelane_b32 v63, s52, 18
	v_writelane_b32 v63, s53, 19
	v_writelane_b32 v63, s54, 20
	v_writelane_b32 v63, s55, 21
	v_writelane_b32 v63, s56, 22
	v_writelane_b32 v63, s57, 23
	v_writelane_b32 v63, s30, 24
	v_writelane_b32 v63, s31, 25
	s_trap 2
	flat_load_dword v7, v[2:3]
	flat_load_dwordx4 v[12:15], v[2:3] offset:72
	flat_load_dwordx2 v[8:9], v[2:3] offset:88
	ds_read_b32 v5, v0
	ds_read_b64 v[22:23], v0
	v_mov_b32_e32 v24, v0
	v_mov_b32_e32 v20, v1
                                        ; implicit-def: $agpr4_agpr5
	s_waitcnt lgkmcnt(0)
	v_readfirstlane_b32 s22, v5
	s_waitcnt vmcnt(0)
	v_not_b32_sdwa v6, v7 dst_sel:DWORD dst_unused:UNUSED_PAD src0_sel:BYTE_0
	v_add_u32_sdwa v0, v7, v6 dst_sel:DWORD dst_unused:UNUSED_PAD src0_sel:BYTE_1 src1_sel:DWORD
	v_ashrrev_i32_e32 v1, 31, v0
	v_mul_lo_u32 v4, v15, v0
	v_mad_u64_u32 v[10:11], s[4:5], v14, v0, 0
	v_accvgpr_write_b32 a0, v12
	v_mul_lo_u32 v0, v14, v1
	v_accvgpr_write_b32 a1, v13
	v_accvgpr_write_b32 a2, v14
	;; [unrolled: 1-line block ×3, first 2 shown]
	v_add3_u32 v4, v11, v0, v4
	v_cmp_ne_u32_sdwa s[4:5], v7, v5 src0_sel:BYTE_0 src1_sel:DWORD
                                        ; implicit-def: $vgpr0_vgpr1
	s_and_saveexec_b64 s[6:7], s[4:5]
	s_xor_b64 s[4:5], exec, s[6:7]
	s_cbranch_execz .LBB0_6
; %bb.1:
	v_cmp_ne_u32_sdwa s[6:7], v7, v5 src0_sel:BYTE_1 src1_sel:DWORD
                                        ; implicit-def: $vgpr0_vgpr1
                                        ; implicit-def: $agpr4_agpr5
	s_and_saveexec_b64 s[10:11], s[6:7]
	s_xor_b64 s[6:7], exec, s[10:11]
	s_cbranch_execz .LBB0_3
; %bb.2:
	flat_load_dwordx2 v[0:1], v[2:3] offset:96
	v_add_u32_e32 v5, v5, v6
	v_accvgpr_read_b32 v15, a3
	v_ashrrev_i32_e32 v6, 31, v5
	v_accvgpr_read_b32 v14, a2
	v_accvgpr_read_b32 v13, a1
	;; [unrolled: 1-line block ×3, first 2 shown]
	v_mul_lo_u32 v6, v14, v6
	v_mul_lo_u32 v7, v15, v5
	v_mad_u64_u32 v[12:13], s[10:11], v14, v5, v[12:13]
	v_add3_u32 v13, v7, v13, v6
	v_accvgpr_write_b32 a4, v12
	v_accvgpr_write_b32 a5, v13
	s_waitcnt vmcnt(0) lgkmcnt(0)
	v_lshrrev_b64 v[0:1], 19, v[0:1]
.LBB0_3:
	s_andn2_saveexec_b64 s[6:7], s[6:7]
	s_cbranch_execz .LBB0_5
; %bb.4:
	flat_load_dword v0, v[2:3] offset:100
	v_accvgpr_read_b32 v13, a1
	v_accvgpr_read_b32 v12, a0
	v_add_co_u32_e32 v6, vcc, v10, v12
	v_addc_co_u32_e32 v7, vcc, v4, v13, vcc
	v_accvgpr_write_b32 a4, v6
	v_pk_mov_b32 v[14:15], v[8:9], v[8:9] op_sel:[0,1]
	v_accvgpr_write_b32 a0, v12
	v_accvgpr_write_b32 a5, v7
	;; [unrolled: 1-line block ×5, first 2 shown]
	s_waitcnt vmcnt(0) lgkmcnt(0)
	v_lshrrev_b32_e32 v0, 8, v0
.LBB0_5:
	s_or_b64 exec, exec, s[6:7]
.LBB0_6:
	s_andn2_saveexec_b64 s[4:5], s[4:5]
	s_cbranch_execz .LBB0_8
; %bb.7:
	flat_load_dwordx2 v[0:1], v[2:3] offset:96
	v_pk_mov_b32 v[6:7], 0, 0
	v_accvgpr_write_b32 a4, v6
	v_accvgpr_mov_b32 a3, a1
	v_accvgpr_write_b32 a5, v7
	v_accvgpr_mov_b32 a2, a0
	s_waitcnt vmcnt(0) lgkmcnt(0)
	v_lshlrev_b64 v[0:1], 2, v[0:1]
.LBB0_8:
	s_or_b64 exec, exec, s[4:5]
	flat_load_ushort v7, v[2:3] offset:8
	flat_load_dword v6, v[2:3] offset:4
	s_load_dword s4, s[8:9], 0x0
	flat_load_dwordx4 a[6:9], v[2:3] offset:16
	v_mov_b32_e32 v3, 0
	v_ashrrev_i32_e32 v25, 31, v24
	v_lshrrev_b32_e32 v1, 26, v25
	s_waitcnt lgkmcnt(0)
	s_cmp_lt_u32 s12, s4
	s_cselect_b32 s4, 12, 18
	s_add_u32 s4, s8, s4
	s_addc_u32 s5, s9, 0
	global_load_ushort v11, v3, s[4:5]
	s_trap 2
	ds_read_b32 v2, v0
	v_add_u32_e32 v1, v24, v1
	v_and_b32_e32 v1, 0xffffffc0, v1
	v_sub_u32_e32 v1, v24, v1
	s_mov_b32 s6, 0
	s_waitcnt lgkmcnt(0)
	v_cmp_gt_i32_e32 vcc, 0, v2
	v_readfirstlane_b32 s8, v2
	s_and_b64 vcc, exec, vcc
	v_pk_mov_b32 v[18:19], 0, 0
	v_cmp_eq_u32_e64 s[4:5], 0, v1
	s_waitcnt vmcnt(0)
	v_lshrrev_b64 v[6:7], 31, v[6:7]
	v_and_b32_e32 v5, 3, v6
	s_cbranch_vccnz .LBB0_10
; %bb.9:
	s_trap 2
	ds_read_b64 v[6:7], v0
	v_lshlrev_b64 v[2:3], 3, v[2:3]
	s_movk_i32 s6, 0xa8
	s_waitcnt lgkmcnt(0)
	v_add_co_u32_e32 v2, vcc, v6, v2
	v_addc_co_u32_e32 v3, vcc, v7, v3, vcc
	flat_load_dwordx2 v[2:3], v[2:3]
	v_and_b32_e32 v6, 0xffff, v5
	s_waitcnt vmcnt(0) lgkmcnt(0)
	v_mad_u64_u32 v[2:3], s[6:7], v6, s6, v[2:3]
	flat_load_dwordx2 a[14:15], v[2:3] offset:504
	flat_load_dwordx2 v[34:35], v[2:3] offset:608
	v_add_co_u32_e32 v2, vcc, 0x1f8, v2
	v_addc_co_u32_e32 v3, vcc, 0, v3, vcc
	v_cndmask_b32_e64 v27, 0, v3, s[4:5]
	v_cndmask_b32_e64 v26, 0, v2, s[4:5]
	s_mov_b32 s6, 1
	s_branch .LBB0_11
.LBB0_10:
	v_pk_mov_b32 v[26:27], v[18:19], v[18:19] op_sel:[0,1]
                                        ; implicit-def: $vgpr34_vgpr35
                                        ; implicit-def: $agpr14_agpr15
.LBB0_11:
	s_trap 2
	ds_read_b32 v2, v0
	s_waitcnt lgkmcnt(0)
	v_cmp_gt_i32_e32 vcc, 0, v2
	s_cbranch_vccnz .LBB0_13
; %bb.12:
	s_trap 2
	ds_read_b64 v[6:7], v0
	v_mov_b32_e32 v3, 0
	v_lshlrev_b64 v[2:3], 3, v[2:3]
	v_and_b32_e32 v5, 0xffff, v5
	s_movk_i32 s4, 0xa8
	s_waitcnt lgkmcnt(0)
	v_add_co_u32_e32 v2, vcc, v6, v2
	v_addc_co_u32_e32 v3, vcc, v7, v3, vcc
	flat_load_dwordx2 v[2:3], v[2:3]
	v_cmp_eq_u32_e32 vcc, 0, v1
	s_waitcnt vmcnt(0) lgkmcnt(0)
	v_mad_u64_u32 v[2:3], s[4:5], v5, s4, v[2:3]
	flat_load_dwordx2 v[36:37], v[2:3]
	flat_load_dwordx2 v[16:17], v[2:3] offset:104
	v_cndmask_b32_e32 v19, 0, v3, vcc
	v_cndmask_b32_e32 v18, 0, v2, vcc
	s_branch .LBB0_14
.LBB0_13:
                                        ; implicit-def: $vgpr16_vgpr17
                                        ; implicit-def: $vgpr36_vgpr37
.LBB0_14:
	v_subrev_u32_e32 v2, 64, v20
	v_pk_mov_b32 v[12:13], 0, 0
	v_cmp_le_i32_e32 vcc, v2, v24
	v_cmp_gt_i32_e64 s[4:5], s6, v1
	v_accvgpr_write_b32 a17, v13
	s_and_b64 s[24:25], vcc, s[4:5]
	v_accvgpr_write_b32 a16, v12
                                        ; implicit-def: $vgpr38_vgpr39
	s_and_saveexec_b64 s[4:5], s[24:25]
	s_cbranch_execz .LBB0_16
; %bb.15:
	flat_load_dwordx2 a[16:17], v[26:27] offset:56
	flat_load_dwordx2 v[38:39], v[26:27] offset:104
.LBB0_16:
	s_or_b64 exec, exec, s[4:5]
	v_cmp_gt_i32_e64 s[4:5], s6, v24
	v_pk_mov_b32 v[50:51], v[12:13], v[12:13] op_sel:[0,1]
                                        ; implicit-def: $vgpr52_vgpr53
	s_and_saveexec_b64 s[6:7], s[4:5]
	s_cbranch_execz .LBB0_18
; %bb.17:
	flat_load_dwordx2 v[50:51], v[18:19] offset:56
	s_waitcnt vmcnt(0) lgkmcnt(0)
	flat_load_dwordx2 v[52:53], v[50:51] glc
	s_waitcnt vmcnt(0)
	flat_load_dwordx4 v[12:15], v[18:19] offset:96
.LBB0_18:
	s_or_b64 exec, exec, s[6:7]
	v_accvgpr_read_b32 v47, a3
	v_accvgpr_read_b32 v46, a2
	;; [unrolled: 1-line block ×4, first 2 shown]
	v_cmp_ne_u64_e32 vcc, 0, v[46:47]
	v_pk_mov_b32 v[40:41], 0, 0
	s_and_saveexec_b64 s[26:27], vcc
	s_cbranch_execz .LBB0_192
; %bb.19:
	v_add_co_u32_e32 v1, vcc, v8, v44
	s_ashr_i32 s6, s8, 31
	v_addc_co_u32_e32 v2, vcc, v9, v45, vcc
	s_lshr_b32 s6, s6, 29
	v_add_co_u32_e32 v44, vcc, v1, v10
	s_ashr_i32 s23, s22, 31
	s_add_i32 s8, s8, s6
	v_addc_co_u32_e32 v45, vcc, v2, v4, vcc
	s_lshl_b64 s[6:7], s[22:23], 2
	v_mov_b32_e32 v1, s7
	v_add_co_u32_e32 v2, vcc, s6, v22
	v_addc_co_u32_e32 v1, vcc, v23, v1, vcc
	v_add_co_u32_e32 v2, vcc, -4, v2
	v_addc_co_u32_e32 v3, vcc, -1, v1, vcc
	v_and_b32_e32 v1, 63, v31
	v_ashrrev_i32_e32 v21, 31, v20
	v_cmp_eq_u32_e64 s[12:13], 0, v1
	v_lshrrev_b32_e32 v1, 26, v21
	v_accvgpr_write_b32 a19, v3
	v_add_u32_e32 v1, v20, v1
	v_accvgpr_write_b32 a18, v2
	v_ashrrev_i32_e32 v2, 6, v1
	v_accvgpr_write_b32 a20, v2
	v_ashrrev_i32_e32 v1, 31, v2
	v_lshlrev_b32_e32 v2, 1, v24
	v_ashrrev_i32_e32 v3, 31, v2
	v_accvgpr_write_b32 a0, v11
	v_cmp_ne_u32_sdwa s[30:31], v11, v20 src0_sel:WORD_0 src1_sel:DWORD
	v_accvgpr_write_b32 a22, v2
	v_lshlrev_b64 v[10:11], 2, v[2:3]
	v_accvgpr_read_b32 v2, a6
	v_accvgpr_read_b32 v4, a8
	v_accvgpr_write_b32 a1, v1
	v_accvgpr_read_b32 v5, a9
	v_add_co_u32_e32 v1, vcc, v4, v10
	v_accvgpr_write_b32 a21, v1
	v_addc_co_u32_e32 v1, vcc, v5, v11, vcc
	v_mov_b32_e32 v42, 0
	v_accvgpr_read_b32 v3, a7
	v_accvgpr_write_b32 a23, v1
	v_add_co_u32_e32 v1, vcc, v2, v10
	v_accvgpr_write_b32 a26, v1
	v_addc_co_u32_e32 v1, vcc, v3, v11, vcc
	v_and_b32_e32 v2, 3, v2
	v_mov_b32_e32 v3, v42
	v_cmp_eq_u64_e64 s[16:17], 0, v[2:3]
	v_accvgpr_read_b32 v2, a4
	v_accvgpr_read_b32 v3, a5
	v_lshlrev_b64 v[2:3], 2, v[2:3]
	v_accvgpr_write_b32 a27, v1
	v_add_co_u32_e32 v1, vcc, v2, v10
	v_and_b32_e32 v6, 0x7ffffc, v0
	v_addc_co_u32_e32 v2, vcc, v3, v11, vcc
	v_lshlrev_b32_e32 v0, 2, v0
	v_add_co_u32_e32 v30, vcc, v4, v1
	v_and_b32_e32 v0, 0x1fffff0, v0
	v_addc_co_u32_e32 v33, vcc, v5, v2, vcc
	v_accvgpr_write_b32 a28, v0
	v_lshlrev_b64 v[0:1], 4, v[24:25]
	s_waitcnt vmcnt(0) lgkmcnt(0)
	v_add_co_u32_e32 v0, vcc, v36, v0
	v_mov_b32_e32 v7, v42
	s_ashr_i32 s10, s8, 3
	v_accvgpr_write_b32 a29, v0
	v_addc_co_u32_e32 v0, vcc, v37, v1, vcc
	s_ashr_i32 s54, s8, 7
	s_and_b32 s23, s10, -16
	v_pk_mov_b32 v[8:9], v[6:7], v[6:7] op_sel:[0,1]
	v_lshlrev_b32_e32 v60, 1, v20
	v_accvgpr_read_b32 v6, a16
	v_accvgpr_write_b32 a25, v11
	v_accvgpr_write_b32 a30, v0
	v_lshlrev_b64 v[0:1], 2, v[44:45]
	v_accvgpr_write_b32 a12, v26
	v_accvgpr_write_b32 a10, v18
	v_ashrrev_i32_e32 v61, 31, v60
	s_cmp_gt_i32 s22, 2
	v_accvgpr_read_b32 v7, a17
	v_accvgpr_write_b32 a24, v10
	v_accvgpr_write_b32 a33, v1
	v_pk_mov_b32 v[10:11], 0, 0
	v_accvgpr_write_b32 a13, v27
	v_accvgpr_write_b32 a11, v19
	s_mov_b64 s[28:29], 0
	v_cmp_ne_u64_e64 s[6:7], 0, v[50:51]
	v_cmp_ne_u64_e64 s[8:9], 0, v[12:13]
	v_cmp_ne_u32_e64 s[10:11], 64, v20
	s_cselect_b64 s[34:35], -1, 0
	v_cmp_ne_u64_e64 s[14:15], 0, v[6:7]
	s_movk_i32 s55, 0x2710
	s_mov_b64 s[36:37], 0x7ffffff8
	v_mov_b32_e32 v62, 0
	v_accvgpr_write_b32 a32, v0
	v_lshlrev_b64 v[58:59], 2, v[60:61]
	v_lshlrev_b64 v[28:29], 4, v[20:21]
	v_pk_mov_b32 v[40:41], v[10:11], v[10:11] op_sel:[0,1]
	v_pk_mov_b32 v[4:5], v[46:47], v[46:47] op_sel:[0,1]
	s_branch .LBB0_21
.LBB0_20:                               ;   in Loop: Header=BB0_21 Depth=1
	s_or_b64 exec, exec, s[18:19]
	v_add_co_u32_e32 v34, vcc, 1, v34
	v_addc_co_u32_e32 v35, vcc, 0, v35, vcc
	v_add_co_u32_e32 v10, vcc, v10, v8
	v_addc_co_u32_e32 v11, vcc, 0, v11, vcc
	v_cmp_ge_u64_e32 vcc, v[10:11], v[4:5]
	v_accvgpr_read_b32 v0, a28
	s_or_b64 s[28:29], vcc, s[28:29]
	v_add_co_u32_e32 v30, vcc, v30, v0
	v_addc_co_u32_e32 v33, vcc, 0, v33, vcc
	s_andn2_b64 exec, exec, s[28:29]
	s_cbranch_execz .LBB0_191
.LBB0_21:                               ; =>This Loop Header: Depth=1
                                        ;     Child Loop BB0_28 Depth 2
                                        ;     Child Loop BB0_45 Depth 2
	;; [unrolled: 1-line block ×5, first 2 shown]
                                        ;       Child Loop BB0_83 Depth 3
                                        ;       Child Loop BB0_99 Depth 3
	;; [unrolled: 1-line block ×3, first 2 shown]
                                        ;         Child Loop BB0_120 Depth 4
                                        ;       Child Loop BB0_134 Depth 3
                                        ;       Child Loop BB0_76 Depth 3
                                        ;     Child Loop BB0_149 Depth 2
                                        ;       Child Loop BB0_155 Depth 3
                                        ;     Child Loop BB0_178 Depth 2
	v_accvgpr_read_b32 v0, a18
	v_accvgpr_read_b32 v1, a19
	flat_load_dword v2, v[0:1]
	v_sub_co_u32_e32 v0, vcc, v4, v10
	v_subb_co_u32_e32 v1, vcc, v5, v11, vcc
	v_cmp_lt_u64_e32 vcc, v[8:9], v[0:1]
	v_cndmask_b32_e32 v3, v0, v8, vcc
	v_lshl_add_u32 v0, v3, 3, 8
	v_and_b32_e32 v0, 0x7fffff0, v0
	v_accvgpr_write_b32 a31, v0
	s_and_saveexec_b64 s[18:19], s[6:7]
	s_cbranch_execz .LBB0_37
; %bb.22:                               ;   in Loop: Header=BB0_21 Depth=1
	v_add_co_u32_e32 v0, vcc, 1, v14
	v_addc_co_u32_e32 v1, vcc, 0, v15, vcc
	v_add_co_u32_e32 v4, vcc, 8, v52
	v_addc_co_u32_e32 v5, vcc, 0, v53, vcc
	v_cmp_lt_u64_e32 vcc, v[4:5], v[0:1]
	s_and_saveexec_b64 s[20:21], vcc
	s_cbranch_execz .LBB0_34
; %bb.23:                               ;   in Loop: Header=BB0_21 Depth=1
	s_sleep 1
	flat_load_dwordx2 v[52:53], v[50:51] glc
	v_cmp_eq_u32_e32 vcc, 0, v62
	s_and_saveexec_b64 s[38:39], vcc
	s_cbranch_execz .LBB0_33
; %bb.24:                               ;   in Loop: Header=BB0_21 Depth=1
	v_cndmask_b32_e64 v4, 0, 1, vcc
	s_mov_b64 s[40:41], 0
                                        ; implicit-def: $sgpr42_sgpr43
	s_branch .LBB0_28
.LBB0_25:                               ;   in Loop: Header=BB0_28 Depth=2
	s_or_b64 exec, exec, s[50:51]
	s_orn2_b64 s[48:49], s[48:49], exec
.LBB0_26:                               ;   in Loop: Header=BB0_28 Depth=2
	s_or_b64 exec, exec, s[46:47]
	s_xor_b64 vcc, s[48:49], -1
	s_andn2_b64 s[42:43], s[42:43], exec
	s_and_b64 vcc, vcc, exec
	s_or_b64 s[42:43], s[42:43], vcc
.LBB0_27:                               ;   in Loop: Header=BB0_28 Depth=2
	s_or_b64 exec, exec, s[44:45]
	s_and_b64 vcc, exec, s[42:43]
	s_or_b64 s[40:41], vcc, s[40:41]
	s_andn2_b64 exec, exec, s[40:41]
	s_cbranch_execz .LBB0_32
.LBB0_28:                               ;   Parent Loop BB0_21 Depth=1
                                        ; =>  This Inner Loop Header: Depth=2
	s_waitcnt vmcnt(0) lgkmcnt(0)
	v_add_co_u32_e32 v6, vcc, 8, v52
	v_addc_co_u32_e32 v7, vcc, 0, v53, vcc
	v_cmp_lt_u64_e32 vcc, v[6:7], v[0:1]
	v_mov_b32_e32 v62, 0
	s_or_b64 s[42:43], s[42:43], exec
	s_and_saveexec_b64 s[44:45], vcc
	s_cbranch_execz .LBB0_27
; %bb.29:                               ;   in Loop: Header=BB0_28 Depth=2
	s_sleep 1
	flat_load_dwordx2 v[52:53], v[50:51] glc
	v_add_u32_e32 v4, 1, v4
	v_cmp_eq_u32_e32 vcc, s55, v4
	s_mov_b64 s[48:49], -1
	v_mov_b32_e32 v62, 0
	s_and_saveexec_b64 s[46:47], vcc
	s_cbranch_execz .LBB0_26
; %bb.30:                               ;   in Loop: Header=BB0_28 Depth=2
	s_trap 2
	ds_read_b64 v[4:5], v0
	v_mov_b32_e32 v62, 0
	s_waitcnt vmcnt(0) lgkmcnt(0)
	flat_load_dword v5, v[4:5] glc
	s_waitcnt vmcnt(0) lgkmcnt(0)
	buffer_invl2
	buffer_wbinvl1_vol
	v_mov_b32_e32 v4, 0
	v_cmp_ne_u32_e32 vcc, 0, v5
	s_and_saveexec_b64 s[50:51], vcc
	s_cbranch_execz .LBB0_25
; %bb.31:                               ;   in Loop: Header=BB0_28 Depth=2
	v_mov_b32_e32 v62, 1
	s_xor_b64 s[48:49], exec, -1
	ds_write_b32 v0, v5
	s_trap 2
	s_branch .LBB0_25
.LBB0_32:                               ;   in Loop: Header=BB0_21 Depth=1
	s_or_b64 exec, exec, s[40:41]
.LBB0_33:                               ;   in Loop: Header=BB0_21 Depth=1
	s_or_b64 exec, exec, s[38:39]
.LBB0_34:                               ;   in Loop: Header=BB0_21 Depth=1
	s_or_b64 exec, exec, s[20:21]
	s_and_saveexec_b64 s[20:21], s[8:9]
	s_cbranch_execz .LBB0_36
; %bb.35:                               ;   in Loop: Header=BB0_21 Depth=1
	v_and_b32_e32 v4, 0x7ffffff8, v14
	v_mov_b32_e32 v5, v42
	v_mov_b32_e32 v6, s23
	v_cmp_eq_u64_e32 vcc, s[36:37], v[4:5]
	v_accvgpr_read_b32 v4, a31
	v_cndmask_b32_e32 v4, v4, v6, vcc
	v_and_b32_e32 v6, 7, v14
	v_ashrrev_i32_e32 v5, 31, v4
	v_mad_u64_u32 v[6:7], vcc, v6, 24, v[12:13]
	flat_store_dwordx2 v[6:7], v[4:5] offset:8
	s_waitcnt vmcnt(0)
.LBB0_36:                               ;   in Loop: Header=BB0_21 Depth=1
	s_or_b64 exec, exec, s[20:21]
	v_pk_mov_b32 v[14:15], v[0:1], v[0:1] op_sel:[0,1]
.LBB0_37:                               ;   in Loop: Header=BB0_21 Depth=1
	s_or_b64 exec, exec, s[18:19]
	s_and_saveexec_b64 s[18:19], s[10:11]
	s_cbranch_execz .LBB0_56
; %bb.38:                               ;   in Loop: Header=BB0_21 Depth=1
	s_and_saveexec_b64 s[20:21], s[30:31]
	s_xor_b64 s[20:21], exec, s[20:21]
	s_cbranch_execz .LBB0_53
; %bb.39:                               ;   in Loop: Header=BB0_21 Depth=1
	s_and_saveexec_b64 s[38:39], s[12:13]
	s_cbranch_execz .LBB0_52
; %bb.40:                               ;   in Loop: Header=BB0_21 Depth=1
	s_mov_b64 s[42:43], exec
	v_mbcnt_lo_u32_b32 v0, s42, 0
	v_mbcnt_hi_u32_b32 v0, s43, v0
	v_cmp_eq_u32_e32 vcc, 0, v0
	s_waitcnt vmcnt(0) lgkmcnt(0)
	buffer_wbinvl1_vol
	s_and_saveexec_b64 s[40:41], vcc
	s_cbranch_execz .LBB0_42
; %bb.41:                               ;   in Loop: Header=BB0_21 Depth=1
	s_bcnt1_i32_b64 vcc_lo, s[42:43]
	v_mov_b32_e32 v0, vcc_lo
	v_mov_b32_e32 v1, v42
	ds_add_u64 v0, v[0:1]
	s_trap 2
.LBB0_42:                               ;   in Loop: Header=BB0_21 Depth=1
	s_or_b64 exec, exec, s[40:41]
	s_trap 2
	ds_read_b64 v[0:1], v0
	v_accvgpr_read_b32 v4, a20
	v_add_co_u32_e32 v40, vcc, v40, v4
	v_accvgpr_read_b32 v5, a1
	v_addc_co_u32_e32 v41, vcc, v41, v5, vcc
	s_waitcnt lgkmcnt(0)
	v_cmp_lt_u64_e32 vcc, v[0:1], v[40:41]
	s_and_saveexec_b64 s[40:41], vcc
	s_cbranch_execz .LBB0_51
; %bb.43:                               ;   in Loop: Header=BB0_21 Depth=1
	s_mov_b32 s52, 0
	s_mov_b64 s[42:43], 0
                                        ; implicit-def: $sgpr44_sgpr45
                                        ; implicit-def: $sgpr46_sgpr47
	s_branch .LBB0_45
.LBB0_44:                               ;   in Loop: Header=BB0_45 Depth=2
	s_or_b64 exec, exec, s[50:51]
	s_and_b64 vcc, exec, vcc
	s_or_b64 s[42:43], vcc, s[42:43]
	s_andn2_b64 vcc, s[44:45], exec
	s_and_b64 s[44:45], s[46:47], exec
	s_or_b64 s[44:45], vcc, s[44:45]
	s_andn2_b64 exec, exec, s[42:43]
	s_cbranch_execz .LBB0_49
.LBB0_45:                               ;   Parent Loop BB0_21 Depth=1
                                        ; =>  This Inner Loop Header: Depth=2
	s_add_i32 s52, s52, 1
	s_cmpk_lg_i32 s52, 0x2710
	s_cselect_b64 s[48:49], -1, 0
	s_and_b64 vcc, exec, s[48:49]
                                        ; implicit-def: $sgpr50_sgpr51
	s_cbranch_vccnz .LBB0_47
; %bb.46:                               ;   in Loop: Header=BB0_45 Depth=2
	s_trap 2
	ds_read_b64 v[0:1], v0
	s_andn2_b64 s[48:49], s[48:49], exec
	s_mov_b32 s52, 0
	s_mov_b64 s[50:51], -1
	s_waitcnt lgkmcnt(0)
	flat_load_dword v0, v[0:1] glc
	s_waitcnt vmcnt(0) lgkmcnt(0)
	buffer_invl2
	buffer_wbinvl1_vol
	v_cmp_eq_u32_e32 vcc, 0, v0
	s_and_b64 vcc, vcc, exec
	s_or_b64 s[48:49], s[48:49], vcc
.LBB0_47:                               ;   in Loop: Header=BB0_45 Depth=2
	s_andn2_b64 s[46:47], s[46:47], exec
	s_and_b64 s[50:51], s[50:51], exec
	s_mov_b64 vcc, -1
	s_or_b64 s[46:47], s[46:47], s[50:51]
	s_and_saveexec_b64 s[50:51], s[48:49]
	s_cbranch_execz .LBB0_44
; %bb.48:                               ;   in Loop: Header=BB0_45 Depth=2
	s_sleep 1
	s_trap 2
	ds_read_b64 v[0:1], v0
	s_andn2_b64 s[46:47], s[46:47], exec
	s_waitcnt lgkmcnt(0)
	v_cmp_ge_u64_e32 vcc, v[0:1], v[40:41]
	s_orn2_b64 vcc, vcc, exec
	s_branch .LBB0_44
.LBB0_49:                               ;   in Loop: Header=BB0_21 Depth=1
	s_or_b64 exec, exec, s[42:43]
	s_and_saveexec_b64 vcc, s[44:45]
	s_xor_b64 vcc, exec, vcc
	s_cbranch_execz .LBB0_51
; %bb.50:                               ;   in Loop: Header=BB0_21 Depth=1
	v_mov_b32_e32 v0, 1
	ds_write_b32 v0, v0
	s_trap 2
.LBB0_51:                               ;   in Loop: Header=BB0_21 Depth=1
	s_or_b64 exec, exec, s[40:41]
	;;#ASMSTART
	s_wakeup
	;;#ASMEND
.LBB0_52:                               ;   in Loop: Header=BB0_21 Depth=1
	s_or_b64 exec, exec, s[38:39]
.LBB0_53:                               ;   in Loop: Header=BB0_21 Depth=1
	s_andn2_saveexec_b64 s[20:21], s[20:21]
	s_cbranch_execz .LBB0_55
; %bb.54:                               ;   in Loop: Header=BB0_21 Depth=1
	s_waitcnt vmcnt(0) lgkmcnt(0)
	buffer_wbinvl1_vol
	s_barrier
.LBB0_55:                               ;   in Loop: Header=BB0_21 Depth=1
	s_or_b64 exec, exec, s[20:21]
.LBB0_56:                               ;   in Loop: Header=BB0_21 Depth=1
	s_or_b64 exec, exec, s[18:19]
	v_accvgpr_read_b32 v0, a22
	v_accvgpr_write_b32 a35, v11
	v_accvgpr_write_b32 a6, v8
	v_sub_u32_e32 v32, v3, v0
	v_accvgpr_write_b32 a34, v10
	v_accvgpr_write_b32 a7, v9
	v_cmp_lt_i32_e64 s[18:19], 0, v32
	v_and_b32_e32 v1, 7, v16
	v_mov_b32_e32 v0, v24
	s_and_saveexec_b64 s[20:21], s[18:19]
	s_cbranch_execz .LBB0_62
; %bb.57:                               ;   in Loop: Header=BB0_21 Depth=1
	v_accvgpr_read_b32 v8, a32
	s_waitcnt vmcnt(0) lgkmcnt(0)
	v_ashrrev_i32_e32 v0, 31, v2
	v_mul_lo_u32 v4, v1, s54
	v_mov_b32_e32 v3, v16
	v_add_co_u32_e64 v6, vcc, 0, 0
	v_accvgpr_read_b32 v9, a33
	v_ashrrev_i32_e32 v5, 31, v4
	v_addc_co_u32_e32 v3, vcc, 1, v3, vcc
	v_mul_lo_u32 v7, v9, v2
	v_mul_lo_u32 v0, v8, v0
	v_mad_u64_u32 v[10:11], vcc, v8, v2, 0
	v_add3_u32 v11, v11, v0, v7
	v_lshlrev_b64 v[4:5], 4, v[4:5]
	v_accvgpr_read_b32 v0, a29
	v_add_co_u32_e32 v18, vcc, v0, v4
	v_accvgpr_read_b32 v0, a30
	v_addc_co_u32_e32 v19, vcc, v0, v5, vcc
	s_mov_b64 s[38:39], 0
	v_mov_b32_e32 v7, v32
	v_mov_b32_e32 v0, v24
                                        ; implicit-def: $vgpr8_vgpr9
	s_branch .LBB0_59
.LBB0_58:                               ;   in Loop: Header=BB0_59 Depth=2
	s_or_b64 exec, exec, s[40:41]
	v_add_co_u32_e32 v10, vcc, v10, v58
	s_waitcnt vmcnt(0)
	v_mov_b32_e32 v4, v9
	v_sub_u32_e32 v7, v7, v60
	v_addc_co_u32_e32 v11, vcc, v11, v59, vcc
	v_or_b32_e32 v2, v6, v2
	v_or_b32_e32 v4, v4, v6
	v_mov_b32_e32 v5, v3
	v_cmp_gt_i32_e32 vcc, 1, v7
	global_store_dwordx4 v[18:19], v[2:5], off
	s_or_b64 s[38:39], vcc, s[38:39]
	v_add_co_u32_e32 v18, vcc, v18, v28
	v_add_u32_e32 v0, v0, v20
	v_addc_co_u32_e32 v19, vcc, v19, v29, vcc
	s_andn2_b64 exec, exec, s[38:39]
	s_cbranch_execz .LBB0_61
.LBB0_59:                               ;   Parent Loop BB0_21 Depth=1
                                        ; =>  This Inner Loop Header: Depth=2
	v_add_co_u32_e32 v4, vcc, v30, v10
	v_addc_co_u32_e32 v5, vcc, v33, v11, vcc
	global_load_dword v2, v[4:5], off glc slc
	v_cmp_ne_u32_e32 vcc, 1, v7
	s_and_saveexec_b64 s[40:41], vcc
	s_cbranch_execz .LBB0_58
; %bb.60:                               ;   in Loop: Header=BB0_59 Depth=2
	global_load_dword v9, v[4:5], off offset:4 glc slc
	s_branch .LBB0_58
.LBB0_61:                               ;   in Loop: Header=BB0_21 Depth=1
	s_or_b64 exec, exec, s[38:39]
.LBB0_62:                               ;   in Loop: Header=BB0_21 Depth=1
	s_or_b64 exec, exec, s[20:21]
	s_waitcnt vmcnt(0) lgkmcnt(0)
	v_and_b32_e32 v2, 0x7ffffff8, v16
	v_mov_b32_e32 v3, v42
	v_cmp_eq_u64_e32 vcc, s[36:37], v[2:3]
	v_cmp_gt_i32_e64 s[20:21], s54, v0
	s_and_b64 s[20:21], vcc, s[20:21]
	s_and_saveexec_b64 s[38:39], s[20:21]
	s_cbranch_execz .LBB0_65
; %bb.63:                               ;   in Loop: Header=BB0_21 Depth=1
	v_mul_lo_u32 v4, v1, s54
	v_mov_b32_e32 v1, v16
	v_add_co_u32_e64 v2, vcc, 0, 0
	v_ashrrev_i32_e32 v5, 31, v4
	v_addc_co_u32_e32 v3, vcc, 1, v1, vcc
	v_ashrrev_i32_e32 v1, 31, v0
	v_lshlrev_b64 v[6:7], 4, v[0:1]
	v_lshlrev_b64 v[4:5], 4, v[4:5]
	v_add_co_u32_e32 v1, vcc, v6, v4
	v_addc_co_u32_e32 v4, vcc, v7, v5, vcc
	v_add_co_u32_e32 v10, vcc, v36, v1
	v_addc_co_u32_e32 v11, vcc, v37, v4, vcc
	s_mov_b64 s[40:41], 0
.LBB0_64:                               ;   Parent Loop BB0_21 Depth=1
                                        ; =>  This Inner Loop Header: Depth=2
	v_mov_b32_e32 v4, v2
	v_mov_b32_e32 v5, v3
	v_add_u32_e32 v0, v0, v20
	global_store_dwordx4 v[10:11], v[2:5], off
	v_cmp_le_i32_e32 vcc, s54, v0
	v_add_co_u32_e64 v10, s[20:21], v10, v28
	s_or_b64 s[40:41], vcc, s[40:41]
	v_addc_co_u32_e64 v11, vcc, v11, v29, s[20:21]
	s_andn2_b64 exec, exec, s[40:41]
	s_cbranch_execnz .LBB0_64
.LBB0_65:                               ;   in Loop: Header=BB0_21 Depth=1
	s_or_b64 exec, exec, s[38:39]
	v_accvgpr_read_b32 v0, a4
	v_accvgpr_read_b32 v2, a34
	v_accvgpr_read_b32 v1, a5
	v_accvgpr_read_b32 v3, a35
	v_add_co_u32_e32 v0, vcc, v2, v0
	v_addc_co_u32_e32 v1, vcc, v3, v1, vcc
	v_add_co_u32_e32 v10, vcc, 1, v16
	v_addc_co_u32_e32 v11, vcc, 0, v17, vcc
	s_andn2_b64 vcc, exec, s[34:35]
	v_lshlrev_b64 v[6:7], 2, v[0:1]
	s_cbranch_vccnz .LBB0_145
; %bb.66:                               ;   in Loop: Header=BB0_21 Depth=1
	v_accvgpr_read_b32 v0, a21
	v_add_co_u32_e32 v43, vcc, v0, v6
	v_accvgpr_read_b32 v0, a23
	v_accvgpr_write_b32 a37, v7
	s_mov_b32 s56, 2
	v_accvgpr_write_b32 a36, v6
	v_addc_co_u32_e32 v25, vcc, v0, v7, vcc
	v_add_u16_e32 v6, 1, v16
	s_branch .LBB0_68
.LBB0_67:                               ;   in Loop: Header=BB0_68 Depth=2
	s_or_b64 exec, exec, s[38:39]
	v_add_co_u32_e32 v34, vcc, 1, v34
	v_addc_co_u32_e32 v35, vcc, 0, v35, vcc
	s_add_i32 s56, s56, 1
	v_add_co_u32_e32 v10, vcc, 1, v10
	v_addc_co_u32_e32 v11, vcc, 0, v11, vcc
	s_cmp_eq_u32 s56, s22
	v_add_u16_e32 v6, 1, v6
	s_cbranch_scc1 .LBB0_146
.LBB0_68:                               ;   Parent Loop BB0_21 Depth=1
                                        ; =>  This Loop Header: Depth=2
                                        ;       Child Loop BB0_83 Depth 3
                                        ;       Child Loop BB0_99 Depth 3
	;; [unrolled: 1-line block ×3, first 2 shown]
                                        ;         Child Loop BB0_120 Depth 4
                                        ;       Child Loop BB0_134 Depth 3
                                        ;       Child Loop BB0_76 Depth 3
	s_sub_i32 s20, s22, s56
	s_ashr_i32 s21, s20, 31
	s_lshl_b64 s[20:21], s[20:21], 2
	v_mov_b32_e32 v1, s21
	v_add_co_u32_e32 v0, vcc, s20, v22
	v_addc_co_u32_e32 v1, vcc, v23, v1, vcc
	flat_load_dword v2, v[0:1]
	s_and_saveexec_b64 s[20:21], s[6:7]
	s_cbranch_execnz .LBB0_77
; %bb.69:                               ;   in Loop: Header=BB0_68 Depth=2
	s_or_b64 exec, exec, s[20:21]
	s_and_saveexec_b64 s[20:21], s[10:11]
	s_cbranch_execnz .LBB0_92
.LBB0_70:                               ;   in Loop: Header=BB0_68 Depth=2
	s_or_b64 exec, exec, s[20:21]
	v_mov_b32_e32 v0, v24
	s_and_saveexec_b64 s[38:39], s[18:19]
	s_cbranch_execnz .LBB0_110
.LBB0_71:                               ;   in Loop: Header=BB0_68 Depth=2
	s_or_b64 exec, exec, s[38:39]
	s_and_saveexec_b64 s[20:21], s[10:11]
	s_cbranch_execnz .LBB0_127
.LBB0_72:                               ;   in Loop: Header=BB0_68 Depth=2
	s_or_b64 exec, exec, s[20:21]
	s_and_saveexec_b64 s[20:21], s[14:15]
	s_cbranch_execz .LBB0_74
.LBB0_73:                               ;   in Loop: Header=BB0_68 Depth=2
	v_add_co_u32_e32 v38, vcc, 1, v38
	s_waitcnt vmcnt(0) lgkmcnt(0)
	v_accvgpr_read_b32 v2, a16
	v_addc_co_u32_e32 v39, vcc, 0, v39, vcc
	v_accvgpr_read_b32 v3, a17
	flat_store_dwordx2 v[2:3], v[38:39]
.LBB0_74:                               ;   in Loop: Header=BB0_68 Depth=2
	s_or_b64 exec, exec, s[20:21]
	s_waitcnt vmcnt(0) lgkmcnt(0)
	v_and_b32_e32 v2, 0x7ffffff8, v10
	v_mov_b32_e32 v3, v42
	v_cmp_eq_u64_e32 vcc, s[36:37], v[2:3]
	v_cmp_gt_i32_e64 s[20:21], s54, v0
	s_and_b64 s[20:21], vcc, s[20:21]
	s_and_saveexec_b64 s[38:39], s[20:21]
	s_cbranch_execz .LBB0_67
; %bb.75:                               ;   in Loop: Header=BB0_68 Depth=2
	v_and_b32_e32 v1, 7, v6
	v_mul_lo_u32 v2, s54, v1
	v_ashrrev_i32_e32 v3, 31, v2
	v_lshlrev_b64 v[4:5], 4, v[2:3]
	v_mov_b32_e32 v1, v10
	v_add_co_u32_e64 v2, vcc, 0, 0
	v_addc_co_u32_e32 v3, vcc, 1, v1, vcc
	v_ashrrev_i32_e32 v1, 31, v0
	v_lshlrev_b64 v[16:17], 4, v[0:1]
	v_add_co_u32_e32 v1, vcc, v16, v4
	v_addc_co_u32_e32 v4, vcc, v17, v5, vcc
	v_add_co_u32_e32 v16, vcc, v36, v1
	v_addc_co_u32_e32 v17, vcc, v37, v4, vcc
	s_mov_b64 s[40:41], 0
.LBB0_76:                               ;   Parent Loop BB0_21 Depth=1
                                        ;     Parent Loop BB0_68 Depth=2
                                        ; =>    This Inner Loop Header: Depth=3
	v_mov_b32_e32 v4, v2
	v_mov_b32_e32 v5, v3
	v_add_u32_e32 v0, v0, v20
	global_store_dwordx4 v[16:17], v[2:5], off
	v_cmp_le_i32_e32 vcc, s54, v0
	v_add_co_u32_e64 v16, s[20:21], v16, v28
	s_or_b64 s[40:41], vcc, s[40:41]
	v_addc_co_u32_e64 v17, vcc, v17, v29, s[20:21]
	s_andn2_b64 exec, exec, s[40:41]
	s_cbranch_execnz .LBB0_76
	s_branch .LBB0_67
.LBB0_77:                               ;   in Loop: Header=BB0_68 Depth=2
	v_add_co_u32_e32 v0, vcc, 1, v14
	v_addc_co_u32_e32 v1, vcc, 0, v15, vcc
	v_add_co_u32_e32 v4, vcc, 8, v52
	v_addc_co_u32_e32 v5, vcc, 0, v53, vcc
	v_cmp_lt_u64_e32 vcc, v[4:5], v[0:1]
	s_and_saveexec_b64 s[38:39], vcc
	s_cbranch_execz .LBB0_89
; %bb.78:                               ;   in Loop: Header=BB0_68 Depth=2
	s_sleep 1
	flat_load_dwordx2 v[52:53], v[50:51] glc
	v_cmp_eq_u32_e32 vcc, 0, v62
	s_and_saveexec_b64 s[40:41], vcc
	s_cbranch_execz .LBB0_88
; %bb.79:                               ;   in Loop: Header=BB0_68 Depth=2
	v_cndmask_b32_e64 v3, 0, 1, vcc
	s_mov_b64 s[42:43], 0
                                        ; implicit-def: $sgpr44_sgpr45
	s_branch .LBB0_83
.LBB0_80:                               ;   in Loop: Header=BB0_83 Depth=3
	s_or_b64 exec, exec, s[52:53]
	s_orn2_b64 s[50:51], s[50:51], exec
.LBB0_81:                               ;   in Loop: Header=BB0_83 Depth=3
	s_or_b64 exec, exec, s[48:49]
	s_xor_b64 vcc, s[50:51], -1
	s_andn2_b64 s[44:45], s[44:45], exec
	s_and_b64 vcc, vcc, exec
	s_or_b64 s[44:45], s[44:45], vcc
.LBB0_82:                               ;   in Loop: Header=BB0_83 Depth=3
	s_or_b64 exec, exec, s[46:47]
	s_and_b64 vcc, exec, s[44:45]
	s_or_b64 s[42:43], vcc, s[42:43]
	s_andn2_b64 exec, exec, s[42:43]
	s_cbranch_execz .LBB0_87
.LBB0_83:                               ;   Parent Loop BB0_21 Depth=1
                                        ;     Parent Loop BB0_68 Depth=2
                                        ; =>    This Inner Loop Header: Depth=3
	s_waitcnt vmcnt(0) lgkmcnt(0)
	v_add_co_u32_e32 v4, vcc, 8, v52
	v_addc_co_u32_e32 v5, vcc, 0, v53, vcc
	v_cmp_lt_u64_e32 vcc, v[4:5], v[0:1]
	v_mov_b32_e32 v62, 0
	s_or_b64 s[44:45], s[44:45], exec
	s_and_saveexec_b64 s[46:47], vcc
	s_cbranch_execz .LBB0_82
; %bb.84:                               ;   in Loop: Header=BB0_83 Depth=3
	s_sleep 1
	flat_load_dwordx2 v[52:53], v[50:51] glc
	v_add_u32_e32 v3, 1, v3
	v_cmp_eq_u32_e32 vcc, s55, v3
	s_mov_b64 s[50:51], -1
	v_mov_b32_e32 v62, 0
	s_and_saveexec_b64 s[48:49], vcc
	s_cbranch_execz .LBB0_81
; %bb.85:                               ;   in Loop: Header=BB0_83 Depth=3
	s_trap 2
	ds_read_b64 v[4:5], v0
	v_mov_b32_e32 v3, 0
	v_mov_b32_e32 v62, 0
	s_waitcnt vmcnt(0) lgkmcnt(0)
	flat_load_dword v4, v[4:5] glc
	s_waitcnt vmcnt(0) lgkmcnt(0)
	buffer_invl2
	buffer_wbinvl1_vol
	v_cmp_ne_u32_e32 vcc, 0, v4
	s_and_saveexec_b64 s[52:53], vcc
	s_cbranch_execz .LBB0_80
; %bb.86:                               ;   in Loop: Header=BB0_83 Depth=3
	v_mov_b32_e32 v62, 1
	s_xor_b64 s[50:51], exec, -1
	ds_write_b32 v0, v4
	s_trap 2
	s_branch .LBB0_80
.LBB0_87:                               ;   in Loop: Header=BB0_68 Depth=2
	s_or_b64 exec, exec, s[42:43]
.LBB0_88:                               ;   in Loop: Header=BB0_68 Depth=2
	s_or_b64 exec, exec, s[40:41]
.LBB0_89:                               ;   in Loop: Header=BB0_68 Depth=2
	s_or_b64 exec, exec, s[38:39]
	s_and_saveexec_b64 s[38:39], s[8:9]
	s_cbranch_execz .LBB0_91
; %bb.90:                               ;   in Loop: Header=BB0_68 Depth=2
	v_and_b32_e32 v4, 0x7ffffff8, v14
	v_mov_b32_e32 v5, v42
	v_mov_b32_e32 v3, s23
	v_cmp_eq_u64_e32 vcc, s[36:37], v[4:5]
	v_accvgpr_read_b32 v4, a31
	v_cndmask_b32_e32 v4, v4, v3, vcc
	v_and_b32_e32 v3, 7, v14
	v_ashrrev_i32_e32 v5, 31, v4
	v_mad_u64_u32 v[14:15], vcc, v3, 24, v[12:13]
	flat_store_dwordx2 v[14:15], v[4:5] offset:8
	s_waitcnt vmcnt(0)
.LBB0_91:                               ;   in Loop: Header=BB0_68 Depth=2
	s_or_b64 exec, exec, s[38:39]
	v_pk_mov_b32 v[14:15], v[0:1], v[0:1] op_sel:[0,1]
	s_or_b64 exec, exec, s[20:21]
	s_and_saveexec_b64 s[20:21], s[10:11]
	s_cbranch_execz .LBB0_70
.LBB0_92:                               ;   in Loop: Header=BB0_68 Depth=2
	s_and_saveexec_b64 vcc, s[30:31]
	s_xor_b64 s[38:39], exec, vcc
	s_cbranch_execz .LBB0_107
; %bb.93:                               ;   in Loop: Header=BB0_68 Depth=2
	s_and_saveexec_b64 s[40:41], s[12:13]
	s_cbranch_execz .LBB0_106
; %bb.94:                               ;   in Loop: Header=BB0_68 Depth=2
	s_mov_b64 s[44:45], exec
	v_mbcnt_lo_u32_b32 v0, s44, 0
	v_mbcnt_hi_u32_b32 v0, s45, v0
	v_cmp_eq_u32_e32 vcc, 0, v0
	s_waitcnt vmcnt(0) lgkmcnt(0)
	buffer_wbinvl1_vol
	s_and_saveexec_b64 s[42:43], vcc
	s_cbranch_execz .LBB0_96
; %bb.95:                               ;   in Loop: Header=BB0_68 Depth=2
	s_bcnt1_i32_b64 vcc_lo, s[44:45]
	v_mov_b32_e32 v0, vcc_lo
	v_mov_b32_e32 v1, v42
	ds_add_u64 v0, v[0:1]
	s_trap 2
.LBB0_96:                               ;   in Loop: Header=BB0_68 Depth=2
	s_or_b64 exec, exec, s[42:43]
	s_trap 2
	ds_read_b64 v[0:1], v0
	v_accvgpr_read_b32 v4, a20
	v_add_co_u32_e32 v40, vcc, v40, v4
	v_accvgpr_read_b32 v3, a1
	v_addc_co_u32_e32 v41, vcc, v41, v3, vcc
	s_waitcnt lgkmcnt(0)
	v_cmp_lt_u64_e32 vcc, v[0:1], v[40:41]
	s_and_saveexec_b64 s[42:43], vcc
	s_cbranch_execz .LBB0_105
; %bb.97:                               ;   in Loop: Header=BB0_68 Depth=2
	s_mov_b32 s57, 0
	s_mov_b64 s[44:45], 0
                                        ; implicit-def: $sgpr46_sgpr47
                                        ; implicit-def: $sgpr48_sgpr49
	s_branch .LBB0_99
.LBB0_98:                               ;   in Loop: Header=BB0_99 Depth=3
	s_or_b64 exec, exec, s[52:53]
	s_and_b64 vcc, exec, vcc
	s_or_b64 s[44:45], vcc, s[44:45]
	s_andn2_b64 vcc, s[46:47], exec
	s_and_b64 s[46:47], s[48:49], exec
	s_or_b64 s[46:47], vcc, s[46:47]
	s_andn2_b64 exec, exec, s[44:45]
	s_cbranch_execz .LBB0_103
.LBB0_99:                               ;   Parent Loop BB0_21 Depth=1
                                        ;     Parent Loop BB0_68 Depth=2
                                        ; =>    This Inner Loop Header: Depth=3
	s_add_i32 s57, s57, 1
	s_cmpk_lg_i32 s57, 0x2710
	s_cselect_b64 s[50:51], -1, 0
	s_and_b64 vcc, exec, s[50:51]
                                        ; implicit-def: $sgpr52_sgpr53
	s_cbranch_vccnz .LBB0_101
; %bb.100:                              ;   in Loop: Header=BB0_99 Depth=3
	s_trap 2
	ds_read_b64 v[0:1], v0
	s_andn2_b64 s[50:51], s[50:51], exec
	s_mov_b32 s57, 0
	s_mov_b64 s[52:53], -1
	s_waitcnt lgkmcnt(0)
	flat_load_dword v0, v[0:1] glc
	s_waitcnt vmcnt(0) lgkmcnt(0)
	buffer_invl2
	buffer_wbinvl1_vol
	v_cmp_eq_u32_e32 vcc, 0, v0
	s_and_b64 vcc, vcc, exec
	s_or_b64 s[50:51], s[50:51], vcc
.LBB0_101:                              ;   in Loop: Header=BB0_99 Depth=3
	s_andn2_b64 s[48:49], s[48:49], exec
	s_and_b64 s[52:53], s[52:53], exec
	s_mov_b64 vcc, -1
	s_or_b64 s[48:49], s[48:49], s[52:53]
	s_and_saveexec_b64 s[52:53], s[50:51]
	s_cbranch_execz .LBB0_98
; %bb.102:                              ;   in Loop: Header=BB0_99 Depth=3
	s_sleep 1
	s_trap 2
	ds_read_b64 v[0:1], v0
	s_andn2_b64 s[48:49], s[48:49], exec
	s_waitcnt lgkmcnt(0)
	v_cmp_ge_u64_e32 vcc, v[0:1], v[40:41]
	s_orn2_b64 vcc, vcc, exec
	s_branch .LBB0_98
.LBB0_103:                              ;   in Loop: Header=BB0_68 Depth=2
	s_or_b64 exec, exec, s[44:45]
	s_and_saveexec_b64 vcc, s[46:47]
	s_xor_b64 vcc, exec, vcc
	s_cbranch_execz .LBB0_105
; %bb.104:                              ;   in Loop: Header=BB0_68 Depth=2
	v_mov_b32_e32 v0, 1
	ds_write_b32 v0, v0
	s_trap 2
.LBB0_105:                              ;   in Loop: Header=BB0_68 Depth=2
	s_or_b64 exec, exec, s[42:43]
	;;#ASMSTART
	s_wakeup
	;;#ASMEND
.LBB0_106:                              ;   in Loop: Header=BB0_68 Depth=2
	s_or_b64 exec, exec, s[40:41]
.LBB0_107:                              ;   in Loop: Header=BB0_68 Depth=2
	s_andn2_saveexec_b64 vcc, s[38:39]
	s_cbranch_execz .LBB0_109
; %bb.108:                              ;   in Loop: Header=BB0_68 Depth=2
	s_waitcnt vmcnt(0) lgkmcnt(0)
	buffer_wbinvl1_vol
	s_barrier
.LBB0_109:                              ;   in Loop: Header=BB0_68 Depth=2
	s_or_b64 exec, exec, vcc
	s_or_b64 exec, exec, s[20:21]
	v_mov_b32_e32 v0, v24
	s_and_saveexec_b64 s[38:39], s[18:19]
	s_cbranch_execz .LBB0_71
.LBB0_110:                              ;   in Loop: Header=BB0_68 Depth=2
	s_waitcnt vmcnt(0) lgkmcnt(0)
	v_ashrrev_i32_e32 v0, 31, v2
	v_mul_lo_u32 v3, v45, v2
	v_mul_lo_u32 v4, v44, v0
	v_mad_u64_u32 v[0:1], s[20:21], v44, v2, 0
	v_add3_u32 v1, v1, v4, v3
	v_lshlrev_b64 v[0:1], 2, v[0:1]
	v_add_co_u32_e32 v56, vcc, v43, v0
	v_and_b32_e32 v0, 7, v34
	v_mul_lo_u32 v0, v0, s54
	v_addc_co_u32_e32 v57, vcc, v25, v1, vcc
	v_ashrrev_i32_e32 v1, 31, v0
	v_lshlrev_b64 v[0:1], 4, v[0:1]
	v_accvgpr_read_b32 v2, a14
	v_add_co_u32_e32 v7, vcc, v2, v0
	v_and_b32_e32 v0, 7, v10
	v_accvgpr_read_b32 v3, a15
	v_mul_lo_u32 v0, v0, s54
	v_addc_co_u32_e32 v21, vcc, v3, v1, vcc
	v_ashrrev_i32_e32 v1, 31, v0
	v_lshlrev_b64 v[0:1], 4, v[0:1]
	v_add_co_u32_e32 v47, vcc, v36, v0
	v_addc_co_u32_e32 v48, vcc, v37, v1, vcc
	v_mov_b32_e32 v1, v10
	v_add_co_u32_e64 v49, vcc, 0, 0
	v_add_u32_e32 v46, 1, v34
	v_addc_co_u32_e32 v3, vcc, 1, v1, vcc
	s_mov_b64 s[40:41], 0
	v_mov_b32_e32 v61, v32
	v_mov_b32_e32 v0, v24
                                        ; implicit-def: $vgpr54_vgpr55
	s_branch .LBB0_114
.LBB0_111:                              ;   in Loop: Header=BB0_114 Depth=3
	s_or_b64 exec, exec, s[46:47]
.LBB0_112:                              ;   in Loop: Header=BB0_114 Depth=3
	s_or_b64 exec, exec, s[44:45]
.LBB0_113:                              ;   in Loop: Header=BB0_114 Depth=3
	s_or_b64 exec, exec, s[42:43]
	v_add_co_u32_e32 v56, vcc, v56, v58
	v_addc_co_u32_e32 v57, vcc, v57, v59, vcc
	s_waitcnt vmcnt(0)
	v_add_u32_e32 v1, v16, v2
	v_add_co_u32_e32 v16, vcc, v47, v4
	v_addc_co_u32_e32 v17, vcc, v48, v5, vcc
	v_sub_u32_e32 v61, v61, v60
	v_or_b32_e32 v2, v49, v1
	v_add_u32_e32 v1, v18, v55
	v_cmp_gt_i32_e32 vcc, 1, v61
	v_or_b32_e32 v4, v49, v1
	v_mov_b32_e32 v5, v3
	s_or_b64 s[40:41], vcc, s[40:41]
	v_add_u32_e32 v0, v0, v20
	global_store_dwordx4 v[16:17], v[2:5], off
	s_andn2_b64 exec, exec, s[40:41]
	s_cbranch_execz .LBB0_126
.LBB0_114:                              ;   Parent Loop BB0_21 Depth=1
                                        ;     Parent Loop BB0_68 Depth=2
                                        ; =>    This Loop Header: Depth=3
                                        ;         Child Loop BB0_120 Depth 4
	global_load_dword v2, v[56:57], off glc slc
	v_cmp_ne_u32_e32 vcc, 1, v61
	s_and_saveexec_b64 s[20:21], vcc
	s_cbranch_execz .LBB0_116
; %bb.115:                              ;   in Loop: Header=BB0_114 Depth=3
	global_load_dword v55, v[56:57], off offset:4 glc slc
.LBB0_116:                              ;   in Loop: Header=BB0_114 Depth=3
	s_or_b64 exec, exec, s[20:21]
	v_ashrrev_i32_e32 v1, 31, v0
	v_lshlrev_b64 v[4:5], 4, v[0:1]
	v_add_co_u32_e32 v8, vcc, v7, v4
	v_addc_co_u32_e32 v9, vcc, v21, v5, vcc
	global_load_dwordx4 v[16:19], v[8:9], off glc slc
	v_cmp_eq_u32_e32 vcc, 0, v62
	s_and_saveexec_b64 s[42:43], vcc
	s_cbranch_execz .LBB0_113
; %bb.117:                              ;   in Loop: Header=BB0_114 Depth=3
	s_waitcnt vmcnt(0)
	v_cmp_ne_u32_e32 vcc, v46, v17
	v_cmp_ne_u32_e64 s[20:21], v46, v19
	s_or_b64 s[20:21], vcc, s[20:21]
	v_mov_b32_e32 v62, 0
	s_and_saveexec_b64 s[44:45], s[20:21]
	s_cbranch_execz .LBB0_112
; %bb.118:                              ;   in Loop: Header=BB0_114 Depth=3
	s_mov_b32 s50, 1
	s_mov_b64 s[46:47], 0
	v_mov_b32_e32 v62, 0
	s_branch .LBB0_120
.LBB0_119:                              ;   in Loop: Header=BB0_120 Depth=4
	s_or_b64 exec, exec, s[48:49]
	s_and_b64 s[20:21], exec, s[20:21]
	s_or_b64 s[46:47], s[20:21], s[46:47]
	s_andn2_b64 exec, exec, s[46:47]
	s_cbranch_execz .LBB0_111
.LBB0_120:                              ;   Parent Loop BB0_21 Depth=1
                                        ;     Parent Loop BB0_68 Depth=2
                                        ;       Parent Loop BB0_114 Depth=3
                                        ; =>      This Inner Loop Header: Depth=4
	global_load_dwordx4 v[16:19], v[8:9], off glc slc
	s_add_i32 s50, s50, 1
	s_cmpk_lg_i32 s50, 0x2710
	s_cbranch_scc1 .LBB0_124
; %bb.121:                              ;   in Loop: Header=BB0_120 Depth=4
	s_trap 2
	ds_read_b64 v[26:27], v0
	s_waitcnt vmcnt(0) lgkmcnt(0)
	flat_load_dword v1, v[26:27] glc
	s_waitcnt vmcnt(0) lgkmcnt(0)
	buffer_invl2
	buffer_wbinvl1_vol
	v_cmp_ne_u32_e32 vcc, 0, v1
	s_and_saveexec_b64 s[20:21], vcc
	s_cbranch_execz .LBB0_123
; %bb.122:                              ;   in Loop: Header=BB0_120 Depth=4
	v_mov_b32_e32 v62, 1
	ds_write_b32 v0, v1
	s_trap 2
.LBB0_123:                              ;   in Loop: Header=BB0_120 Depth=4
	s_or_b64 exec, exec, s[20:21]
	s_mov_b32 s50, 0
	v_mov_b32_e32 v1, v62
	v_cmp_eq_u32_e32 vcc, 0, v1
	s_mov_b64 s[20:21], -1
	s_and_saveexec_b64 s[48:49], vcc
	s_cbranch_execz .LBB0_119
	s_branch .LBB0_125
.LBB0_124:                              ;   in Loop: Header=BB0_120 Depth=4
	v_mov_b32_e32 v1, 0
	v_cmp_eq_u32_e32 vcc, 0, v1
	s_mov_b64 s[20:21], -1
	s_and_saveexec_b64 s[48:49], vcc
	s_cbranch_execz .LBB0_119
.LBB0_125:                              ;   in Loop: Header=BB0_120 Depth=4
	s_waitcnt vmcnt(0)
	v_cmp_eq_u32_e32 vcc, v46, v17
	v_cmp_eq_u32_e64 s[20:21], v46, v19
	s_and_b64 s[20:21], vcc, s[20:21]
	s_orn2_b64 s[20:21], s[20:21], exec
	s_branch .LBB0_119
.LBB0_126:                              ;   in Loop: Header=BB0_68 Depth=2
	s_or_b64 exec, exec, s[40:41]
	s_or_b64 exec, exec, s[38:39]
	s_and_saveexec_b64 s[20:21], s[10:11]
	s_cbranch_execz .LBB0_72
.LBB0_127:                              ;   in Loop: Header=BB0_68 Depth=2
	s_and_saveexec_b64 vcc, s[30:31]
	s_xor_b64 s[38:39], exec, vcc
	s_cbranch_execz .LBB0_142
; %bb.128:                              ;   in Loop: Header=BB0_68 Depth=2
	s_and_saveexec_b64 s[40:41], s[12:13]
	s_cbranch_execz .LBB0_141
; %bb.129:                              ;   in Loop: Header=BB0_68 Depth=2
	s_mov_b64 s[44:45], exec
	v_mbcnt_lo_u32_b32 v1, s44, 0
	v_mbcnt_hi_u32_b32 v1, s45, v1
	v_cmp_eq_u32_e32 vcc, 0, v1
	s_waitcnt vmcnt(0) lgkmcnt(0)
	buffer_wbinvl1_vol
	s_and_saveexec_b64 s[42:43], vcc
	s_cbranch_execz .LBB0_131
; %bb.130:                              ;   in Loop: Header=BB0_68 Depth=2
	s_bcnt1_i32_b64 vcc_lo, s[44:45]
	v_mov_b32_e32 v2, vcc_lo
	v_mov_b32_e32 v3, v42
	ds_add_u64 v0, v[2:3]
	s_trap 2
.LBB0_131:                              ;   in Loop: Header=BB0_68 Depth=2
	s_or_b64 exec, exec, s[42:43]
	s_trap 2
	ds_read_b64 v[2:3], v0
	v_accvgpr_read_b32 v4, a20
	v_add_co_u32_e32 v40, vcc, v40, v4
	v_accvgpr_read_b32 v1, a1
	v_addc_co_u32_e32 v41, vcc, v41, v1, vcc
	s_waitcnt lgkmcnt(0)
	v_cmp_lt_u64_e32 vcc, v[2:3], v[40:41]
	s_and_saveexec_b64 s[42:43], vcc
	s_cbranch_execz .LBB0_140
; %bb.132:                              ;   in Loop: Header=BB0_68 Depth=2
	s_mov_b32 s57, 0
	s_mov_b64 s[44:45], 0
                                        ; implicit-def: $sgpr46_sgpr47
                                        ; implicit-def: $sgpr48_sgpr49
	s_branch .LBB0_134
.LBB0_133:                              ;   in Loop: Header=BB0_134 Depth=3
	s_or_b64 exec, exec, s[52:53]
	s_and_b64 vcc, exec, vcc
	s_or_b64 s[44:45], vcc, s[44:45]
	s_andn2_b64 vcc, s[46:47], exec
	s_and_b64 s[46:47], s[48:49], exec
	s_or_b64 s[46:47], vcc, s[46:47]
	s_andn2_b64 exec, exec, s[44:45]
	s_cbranch_execz .LBB0_138
.LBB0_134:                              ;   Parent Loop BB0_21 Depth=1
                                        ;     Parent Loop BB0_68 Depth=2
                                        ; =>    This Inner Loop Header: Depth=3
	s_add_i32 s57, s57, 1
	s_cmpk_lg_i32 s57, 0x2710
	s_cselect_b64 s[50:51], -1, 0
	s_and_b64 vcc, exec, s[50:51]
                                        ; implicit-def: $sgpr52_sgpr53
	s_cbranch_vccnz .LBB0_136
; %bb.135:                              ;   in Loop: Header=BB0_134 Depth=3
	s_trap 2
	ds_read_b64 v[2:3], v0
	s_andn2_b64 s[50:51], s[50:51], exec
	s_mov_b32 s57, 0
	s_mov_b64 s[52:53], -1
	s_waitcnt lgkmcnt(0)
	flat_load_dword v1, v[2:3] glc
	s_waitcnt vmcnt(0) lgkmcnt(0)
	buffer_invl2
	buffer_wbinvl1_vol
	v_cmp_eq_u32_e32 vcc, 0, v1
	s_and_b64 vcc, vcc, exec
	s_or_b64 s[50:51], s[50:51], vcc
.LBB0_136:                              ;   in Loop: Header=BB0_134 Depth=3
	s_andn2_b64 s[48:49], s[48:49], exec
	s_and_b64 s[52:53], s[52:53], exec
	s_mov_b64 vcc, -1
	s_or_b64 s[48:49], s[48:49], s[52:53]
	s_and_saveexec_b64 s[52:53], s[50:51]
	s_cbranch_execz .LBB0_133
; %bb.137:                              ;   in Loop: Header=BB0_134 Depth=3
	s_sleep 1
	s_trap 2
	ds_read_b64 v[2:3], v0
	s_andn2_b64 s[48:49], s[48:49], exec
	s_waitcnt lgkmcnt(0)
	v_cmp_ge_u64_e32 vcc, v[2:3], v[40:41]
	s_orn2_b64 vcc, vcc, exec
	s_branch .LBB0_133
.LBB0_138:                              ;   in Loop: Header=BB0_68 Depth=2
	s_or_b64 exec, exec, s[44:45]
	s_and_saveexec_b64 vcc, s[46:47]
	s_xor_b64 vcc, exec, vcc
	s_cbranch_execz .LBB0_140
; %bb.139:                              ;   in Loop: Header=BB0_68 Depth=2
	v_mov_b32_e32 v1, 1
	ds_write_b32 v0, v1
	s_trap 2
.LBB0_140:                              ;   in Loop: Header=BB0_68 Depth=2
	s_or_b64 exec, exec, s[42:43]
	;;#ASMSTART
	s_wakeup
	;;#ASMEND
.LBB0_141:                              ;   in Loop: Header=BB0_68 Depth=2
	s_or_b64 exec, exec, s[40:41]
.LBB0_142:                              ;   in Loop: Header=BB0_68 Depth=2
	s_andn2_saveexec_b64 vcc, s[38:39]
	s_cbranch_execz .LBB0_144
; %bb.143:                              ;   in Loop: Header=BB0_68 Depth=2
	s_waitcnt vmcnt(0) lgkmcnt(0)
	buffer_wbinvl1_vol
	s_barrier
.LBB0_144:                              ;   in Loop: Header=BB0_68 Depth=2
	s_or_b64 exec, exec, vcc
	s_or_b64 exec, exec, s[20:21]
	s_and_saveexec_b64 s[20:21], s[14:15]
	s_cbranch_execnz .LBB0_73
	s_branch .LBB0_74
.LBB0_145:                              ;   in Loop: Header=BB0_21 Depth=1
	v_pk_mov_b32 v[16:17], v[10:11], v[10:11] op_sel:[0,1]
	s_and_saveexec_b64 s[38:39], s[18:19]
	s_cbranch_execnz .LBB0_147
	s_branch .LBB0_170
.LBB0_146:                              ;   in Loop: Header=BB0_21 Depth=1
	v_accvgpr_read_b32 v6, a36
	v_pk_mov_b32 v[16:17], v[10:11], v[10:11] op_sel:[0,1]
	v_accvgpr_read_b32 v7, a37
	s_and_saveexec_b64 s[38:39], s[18:19]
	s_cbranch_execz .LBB0_170
.LBB0_147:                              ;   in Loop: Header=BB0_21 Depth=1
	flat_load_dword v4, v[22:23]
	v_accvgpr_read_b32 v2, a8
	v_accvgpr_read_b32 v3, a9
	v_add_co_u32_e32 v5, vcc, v2, v6
	v_and_b32_e32 v2, 7, v34
	v_addc_co_u32_e32 v10, vcc, v3, v7, vcc
	v_accvgpr_read_b32 v0, a26
	v_mul_lo_u32 v2, v2, s54
	v_add_co_u32_e32 v0, vcc, v0, v6
	v_accvgpr_read_b32 v1, a27
	v_ashrrev_i32_e32 v3, 31, v2
	v_addc_co_u32_e32 v1, vcc, v1, v7, vcc
	v_lshlrev_b64 v[2:3], 4, v[2:3]
	v_accvgpr_read_b32 v8, a14
	v_accvgpr_read_b32 v9, a15
	v_add_co_u32_e32 v7, vcc, v8, v2
	v_addc_co_u32_e32 v21, vcc, v9, v3, vcc
	v_add_u32_e32 v6, 1, v34
	s_mov_b64 s[40:41], 0
                                        ; implicit-def: $vgpr46_vgpr47
	s_waitcnt vmcnt(0) lgkmcnt(0)
	v_ashrrev_i32_e32 v11, 31, v4
	v_mul_lo_u32 v18, v45, v4
	v_mad_u64_u32 v[2:3], s[18:19], v44, v4, 0
	v_mul_lo_u32 v4, v44, v11
	v_add3_u32 v3, v3, v4, v18
	v_lshlrev_b64 v[2:3], 2, v[2:3]
	v_add_co_u32_e32 v2, vcc, v5, v2
	v_addc_co_u32_e32 v3, vcc, v10, v3, vcc
	v_accvgpr_read_b32 v4, a24
	v_accvgpr_read_b32 v5, a25
	v_add_co_u32_e32 v10, vcc, v2, v4
	v_addc_co_u32_e32 v11, vcc, v3, v5, vcc
	v_mov_b32_e32 v18, v24
	s_branch .LBB0_149
.LBB0_148:                              ;   in Loop: Header=BB0_149 Depth=2
	v_add_co_u32_e32 v10, vcc, v10, v58
	v_addc_co_u32_e32 v11, vcc, v11, v59, vcc
	v_add_co_u32_e32 v0, vcc, v0, v58
	v_addc_co_u32_e32 v1, vcc, v1, v59, vcc
	v_sub_u32_e32 v32, v32, v60
	v_cmp_gt_i32_e32 vcc, 1, v32
	v_or_b32_e32 v47, 0, v47
	v_or_b32_e32 v46, v46, v56
	s_or_b64 s[40:41], vcc, s[40:41]
	v_add_u32_e32 v18, v18, v20
	s_andn2_b64 exec, exec, s[40:41]
	s_cbranch_execz .LBB0_169
.LBB0_149:                              ;   Parent Loop BB0_21 Depth=1
                                        ; =>  This Loop Header: Depth=2
                                        ;       Child Loop BB0_155 Depth 3
	global_load_dword v56, v[10:11], off glc slc
	v_cmp_ne_u32_e32 vcc, 1, v32
	s_and_saveexec_b64 s[18:19], vcc
	s_cbranch_execz .LBB0_151
; %bb.150:                              ;   in Loop: Header=BB0_149 Depth=2
	global_load_dword v43, v[10:11], off offset:4 glc slc
	s_waitcnt vmcnt(0)
	v_pk_mov_b32 v[46:47], v[42:43], v[42:43] op_sel:[0,1]
.LBB0_151:                              ;   in Loop: Header=BB0_149 Depth=2
	s_or_b64 exec, exec, s[18:19]
	v_ashrrev_i32_e32 v19, 31, v18
	v_lshlrev_b64 v[2:3], 4, v[18:19]
	v_add_co_u32_e64 v54, s[18:19], v7, v2
	v_addc_co_u32_e64 v55, s[18:19], v21, v3, s[18:19]
	global_load_dwordx4 v[2:5], v[54:55], off glc slc
	v_cmp_eq_u32_e64 s[18:19], 0, v62
	s_and_saveexec_b64 s[42:43], s[18:19]
	s_cbranch_execz .LBB0_163
; %bb.152:                              ;   in Loop: Header=BB0_149 Depth=2
	s_waitcnt vmcnt(0)
	v_cmp_ne_u32_e64 s[18:19], v6, v3
	v_cmp_ne_u32_e64 s[20:21], v6, v5
	s_or_b64 s[18:19], s[18:19], s[20:21]
	v_mov_b32_e32 v62, 0
	s_and_saveexec_b64 s[44:45], s[18:19]
	s_cbranch_execz .LBB0_162
; %bb.153:                              ;   in Loop: Header=BB0_149 Depth=2
	s_mov_b32 s50, 1
	s_mov_b64 s[46:47], 0
	v_mov_b32_e32 v62, 0
	s_branch .LBB0_155
.LBB0_154:                              ;   in Loop: Header=BB0_155 Depth=3
	s_or_b64 exec, exec, s[48:49]
	s_and_b64 s[18:19], exec, s[20:21]
	s_or_b64 s[46:47], s[18:19], s[46:47]
	s_andn2_b64 exec, exec, s[46:47]
	s_cbranch_execz .LBB0_161
.LBB0_155:                              ;   Parent Loop BB0_21 Depth=1
                                        ;     Parent Loop BB0_149 Depth=2
                                        ; =>    This Inner Loop Header: Depth=3
	global_load_dwordx4 v[2:5], v[54:55], off glc slc
	s_add_i32 s50, s50, 1
	s_cmpk_lg_i32 s50, 0x2710
	s_cbranch_scc1 .LBB0_159
; %bb.156:                              ;   in Loop: Header=BB0_155 Depth=3
	s_trap 2
	ds_read_b64 v[8:9], v0
	s_waitcnt vmcnt(0) lgkmcnt(0)
	flat_load_dword v19, v[8:9] glc
	s_waitcnt vmcnt(0) lgkmcnt(0)
	buffer_invl2
	buffer_wbinvl1_vol
	v_cmp_ne_u32_e64 s[18:19], 0, v19
	s_and_saveexec_b64 s[20:21], s[18:19]
	s_cbranch_execz .LBB0_158
; %bb.157:                              ;   in Loop: Header=BB0_155 Depth=3
	v_mov_b32_e32 v62, 1
	ds_write_b32 v0, v19
	s_trap 2
.LBB0_158:                              ;   in Loop: Header=BB0_155 Depth=3
	s_or_b64 exec, exec, s[20:21]
	s_mov_b32 s50, 0
	v_mov_b32_e32 v19, v62
	v_cmp_eq_u32_e64 s[18:19], 0, v19
	s_mov_b64 s[20:21], -1
	s_and_saveexec_b64 s[48:49], s[18:19]
	s_cbranch_execz .LBB0_154
	s_branch .LBB0_160
.LBB0_159:                              ;   in Loop: Header=BB0_155 Depth=3
	v_mov_b32_e32 v19, 0
	v_cmp_eq_u32_e64 s[18:19], 0, v19
	s_mov_b64 s[20:21], -1
	s_and_saveexec_b64 s[48:49], s[18:19]
	s_cbranch_execz .LBB0_154
.LBB0_160:                              ;   in Loop: Header=BB0_155 Depth=3
	s_waitcnt vmcnt(0)
	v_cmp_eq_u32_e64 s[18:19], v6, v3
	v_cmp_eq_u32_e64 s[20:21], v6, v5
	s_and_b64 s[18:19], s[18:19], s[20:21]
	s_orn2_b64 s[20:21], s[18:19], exec
	s_branch .LBB0_154
.LBB0_161:                              ;   in Loop: Header=BB0_149 Depth=2
	s_or_b64 exec, exec, s[46:47]
.LBB0_162:                              ;   in Loop: Header=BB0_149 Depth=2
	s_or_b64 exec, exec, s[44:45]
.LBB0_163:                              ;   in Loop: Header=BB0_149 Depth=2
	s_or_b64 exec, exec, s[42:43]
	s_waitcnt vmcnt(0)
	v_add_co_u32_e64 v2, s[18:19], v2, v56
	v_mov_b32_e32 v3, v4
	v_add_co_u32_e64 v4, s[18:19], 0, v46
	v_addc_co_u32_e64 v3, s[18:19], v3, v47, s[18:19]
	v_cmp_ne_u32_e64 s[18:19], 1, v32
	s_and_b64 s[18:19], s[16:17], s[18:19]
	v_cndmask_b32_e64 v4, 0, 1, s[18:19]
	;;#ASMSTART
	;;#ASMEND
	v_cmp_ne_u32_e64 s[18:19], 0, v4
	s_cmp_lg_u64 s[18:19], exec
	s_mov_b64 s[18:19], -1
	s_cbranch_scc0 .LBB0_167
; %bb.164:                              ;   in Loop: Header=BB0_149 Depth=2
	flat_store_dword v[0:1], v2
	s_and_saveexec_b64 s[18:19], vcc
	s_cbranch_execz .LBB0_166
; %bb.165:                              ;   in Loop: Header=BB0_149 Depth=2
	flat_store_dword v[0:1], v3 offset:4
.LBB0_166:                              ;   in Loop: Header=BB0_149 Depth=2
	s_or_b64 exec, exec, s[18:19]
	s_mov_b64 s[18:19], 0
.LBB0_167:                              ;   in Loop: Header=BB0_149 Depth=2
	s_andn2_b64 vcc, exec, s[18:19]
	s_cbranch_vccnz .LBB0_148
; %bb.168:                              ;   in Loop: Header=BB0_149 Depth=2
	global_store_dwordx2 v[0:1], v[2:3], off
	s_branch .LBB0_148
.LBB0_169:                              ;   in Loop: Header=BB0_21 Depth=1
	s_or_b64 exec, exec, s[40:41]
.LBB0_170:                              ;   in Loop: Header=BB0_21 Depth=1
	s_or_b64 exec, exec, s[38:39]
	v_accvgpr_read_b32 v5, a3
	v_accvgpr_read_b32 v9, a7
	;; [unrolled: 1-line block ×6, first 2 shown]
	s_and_saveexec_b64 s[18:19], s[10:11]
	s_cbranch_execz .LBB0_189
; %bb.171:                              ;   in Loop: Header=BB0_21 Depth=1
	s_and_saveexec_b64 s[20:21], s[30:31]
	s_xor_b64 s[20:21], exec, s[20:21]
	s_cbranch_execz .LBB0_186
; %bb.172:                              ;   in Loop: Header=BB0_21 Depth=1
	s_and_saveexec_b64 s[38:39], s[12:13]
	s_cbranch_execz .LBB0_185
; %bb.173:                              ;   in Loop: Header=BB0_21 Depth=1
	s_mov_b64 s[42:43], exec
	v_mbcnt_lo_u32_b32 v0, s42, 0
	v_mbcnt_hi_u32_b32 v0, s43, v0
	v_cmp_eq_u32_e32 vcc, 0, v0
	s_waitcnt vmcnt(0) lgkmcnt(0)
	buffer_wbinvl1_vol
	s_and_saveexec_b64 s[40:41], vcc
	s_cbranch_execz .LBB0_175
; %bb.174:                              ;   in Loop: Header=BB0_21 Depth=1
	s_bcnt1_i32_b64 vcc_lo, s[42:43]
	v_mov_b32_e32 v0, vcc_lo
	v_mov_b32_e32 v1, v42
	ds_add_u64 v0, v[0:1]
	s_trap 2
.LBB0_175:                              ;   in Loop: Header=BB0_21 Depth=1
	s_or_b64 exec, exec, s[40:41]
	s_trap 2
	ds_read_b64 v[0:1], v0
	v_accvgpr_read_b32 v2, a20
	v_add_co_u32_e32 v40, vcc, v40, v2
	v_accvgpr_read_b32 v3, a1
	v_addc_co_u32_e32 v41, vcc, v41, v3, vcc
	s_waitcnt lgkmcnt(0)
	v_cmp_lt_u64_e32 vcc, v[0:1], v[40:41]
	s_and_saveexec_b64 s[40:41], vcc
	s_cbranch_execz .LBB0_184
; %bb.176:                              ;   in Loop: Header=BB0_21 Depth=1
	s_mov_b32 s52, 0
	s_mov_b64 s[42:43], 0
                                        ; implicit-def: $sgpr44_sgpr45
                                        ; implicit-def: $sgpr46_sgpr47
	s_branch .LBB0_178
.LBB0_177:                              ;   in Loop: Header=BB0_178 Depth=2
	s_or_b64 exec, exec, s[50:51]
	s_and_b64 vcc, exec, vcc
	s_or_b64 s[42:43], vcc, s[42:43]
	s_andn2_b64 vcc, s[44:45], exec
	s_and_b64 s[44:45], s[46:47], exec
	s_or_b64 s[44:45], vcc, s[44:45]
	s_andn2_b64 exec, exec, s[42:43]
	s_cbranch_execz .LBB0_182
.LBB0_178:                              ;   Parent Loop BB0_21 Depth=1
                                        ; =>  This Inner Loop Header: Depth=2
	s_add_i32 s52, s52, 1
	s_cmpk_lg_i32 s52, 0x2710
	s_cselect_b64 s[48:49], -1, 0
	s_and_b64 vcc, exec, s[48:49]
                                        ; implicit-def: $sgpr50_sgpr51
	s_cbranch_vccnz .LBB0_180
; %bb.179:                              ;   in Loop: Header=BB0_178 Depth=2
	s_trap 2
	ds_read_b64 v[0:1], v0
	s_andn2_b64 s[48:49], s[48:49], exec
	s_mov_b32 s52, 0
	s_mov_b64 s[50:51], -1
	s_waitcnt lgkmcnt(0)
	flat_load_dword v0, v[0:1] glc
	s_waitcnt vmcnt(0) lgkmcnt(0)
	buffer_invl2
	buffer_wbinvl1_vol
	v_cmp_eq_u32_e32 vcc, 0, v0
	s_and_b64 vcc, vcc, exec
	s_or_b64 s[48:49], s[48:49], vcc
.LBB0_180:                              ;   in Loop: Header=BB0_178 Depth=2
	s_andn2_b64 s[46:47], s[46:47], exec
	s_and_b64 s[50:51], s[50:51], exec
	s_mov_b64 vcc, -1
	s_or_b64 s[46:47], s[46:47], s[50:51]
	s_and_saveexec_b64 s[50:51], s[48:49]
	s_cbranch_execz .LBB0_177
; %bb.181:                              ;   in Loop: Header=BB0_178 Depth=2
	s_sleep 1
	s_trap 2
	ds_read_b64 v[0:1], v0
	s_andn2_b64 s[46:47], s[46:47], exec
	s_waitcnt lgkmcnt(0)
	v_cmp_ge_u64_e32 vcc, v[0:1], v[40:41]
	s_orn2_b64 vcc, vcc, exec
	s_branch .LBB0_177
.LBB0_182:                              ;   in Loop: Header=BB0_21 Depth=1
	s_or_b64 exec, exec, s[42:43]
	s_and_saveexec_b64 vcc, s[44:45]
	s_xor_b64 vcc, exec, vcc
	s_cbranch_execz .LBB0_184
; %bb.183:                              ;   in Loop: Header=BB0_21 Depth=1
	v_mov_b32_e32 v0, 1
	ds_write_b32 v0, v0
	s_trap 2
.LBB0_184:                              ;   in Loop: Header=BB0_21 Depth=1
	s_or_b64 exec, exec, s[40:41]
	;;#ASMSTART
	s_wakeup
	;;#ASMEND
.LBB0_185:                              ;   in Loop: Header=BB0_21 Depth=1
	s_or_b64 exec, exec, s[38:39]
.LBB0_186:                              ;   in Loop: Header=BB0_21 Depth=1
	s_andn2_saveexec_b64 s[20:21], s[20:21]
	s_cbranch_execz .LBB0_188
; %bb.187:                              ;   in Loop: Header=BB0_21 Depth=1
	s_waitcnt vmcnt(0) lgkmcnt(0)
	buffer_wbinvl1_vol
	s_barrier
.LBB0_188:                              ;   in Loop: Header=BB0_21 Depth=1
	s_or_b64 exec, exec, s[20:21]
.LBB0_189:                              ;   in Loop: Header=BB0_21 Depth=1
	s_or_b64 exec, exec, s[18:19]
	s_and_saveexec_b64 s[18:19], s[14:15]
	s_cbranch_execz .LBB0_20
; %bb.190:                              ;   in Loop: Header=BB0_21 Depth=1
	v_add_co_u32_e32 v38, vcc, 1, v38
	v_accvgpr_read_b32 v0, a16
	v_addc_co_u32_e32 v39, vcc, 0, v39, vcc
	v_accvgpr_read_b32 v1, a17
	flat_store_dwordx2 v[0:1], v[38:39]
	s_branch .LBB0_20
.LBB0_191:
	s_or_b64 exec, exec, s[28:29]
	v_accvgpr_read_b32 v19, a11
	v_accvgpr_read_b32 v27, a13
	;; [unrolled: 1-line block ×5, first 2 shown]
.LBB0_192:
	s_or_b64 exec, exec, s[26:27]
; %bb.193:
	s_and_saveexec_b64 s[6:7], s[24:25]
	s_cbranch_execnz .LBB0_196
; %bb.194:
	s_or_b64 exec, exec, s[6:7]
	s_and_saveexec_b64 s[6:7], s[4:5]
	s_cbranch_execnz .LBB0_197
.LBB0_195:
	s_or_b64 exec, exec, s[6:7]
	v_cmp_ne_u32_e32 vcc, 64, v20
	s_and_saveexec_b64 s[4:5], vcc
	s_cbranch_execnz .LBB0_198
	s_branch .LBB0_215
.LBB0_196:
	s_waitcnt vmcnt(0) lgkmcnt(0)
	flat_store_dwordx2 v[26:27], v[38:39] offset:104
	s_or_b64 exec, exec, s[6:7]
	s_and_saveexec_b64 s[6:7], s[4:5]
	s_cbranch_execz .LBB0_195
.LBB0_197:
	s_waitcnt vmcnt(0) lgkmcnt(0)
	flat_store_dwordx2 v[18:19], v[14:15] offset:104
	s_or_b64 exec, exec, s[6:7]
	v_cmp_ne_u32_e32 vcc, 64, v20
	s_and_saveexec_b64 s[4:5], vcc
	s_cbranch_execz .LBB0_215
.LBB0_198:
	v_cmp_ne_u32_sdwa s[6:7], v11, v20 src0_sel:WORD_0 src1_sel:DWORD
	s_and_saveexec_b64 s[8:9], s[6:7]
	s_xor_b64 s[6:7], exec, s[8:9]
	s_cbranch_execz .LBB0_213
; %bb.199:
	v_and_b32_e32 v0, 63, v31
	v_cmp_eq_u32_e32 vcc, 0, v0
	s_and_saveexec_b64 s[8:9], vcc
	s_cbranch_execz .LBB0_212
; %bb.200:
	s_mov_b64 s[12:13], exec
	v_mbcnt_lo_u32_b32 v0, s12, 0
	v_mbcnt_hi_u32_b32 v0, s13, v0
	v_cmp_eq_u32_e32 vcc, 0, v0
	s_waitcnt vmcnt(0) lgkmcnt(0)
	buffer_wbinvl1_vol
	s_and_saveexec_b64 s[10:11], vcc
	s_cbranch_execz .LBB0_202
; %bb.201:
	s_bcnt1_i32_b64 s12, s[12:13]
	v_mov_b32_e32 v0, s12
	v_mov_b32_e32 v1, 0
	ds_add_u64 v0, v[0:1]
	s_trap 2
.LBB0_202:
	s_or_b64 exec, exec, s[10:11]
	v_ashrrev_i32_e32 v0, 31, v20
	v_lshrrev_b32_e32 v0, 26, v0
	v_add_u32_e32 v0, v20, v0
	v_ashrrev_i32_e32 v0, 6, v0
	s_trap 2
	ds_read_b64 v[2:3], v0
	v_ashrrev_i32_e32 v1, 31, v0
	v_add_co_u32_e32 v0, vcc, v40, v0
	v_addc_co_u32_e32 v1, vcc, v41, v1, vcc
	s_waitcnt lgkmcnt(0)
	v_cmp_lt_u64_e32 vcc, v[2:3], v[0:1]
	s_and_saveexec_b64 s[10:11], vcc
	s_cbranch_execz .LBB0_211
; %bb.203:
	s_mov_b32 s24, 0
	s_mov_b64 s[12:13], 0
                                        ; implicit-def: $sgpr14_sgpr15
                                        ; implicit-def: $sgpr16_sgpr17
	s_branch .LBB0_205
.LBB0_204:                              ;   in Loop: Header=BB0_205 Depth=1
	s_or_b64 exec, exec, s[22:23]
	s_and_b64 s[18:19], exec, s[20:21]
	s_or_b64 s[12:13], s[18:19], s[12:13]
	s_andn2_b64 s[14:15], s[14:15], exec
	s_and_b64 s[18:19], s[16:17], exec
	s_or_b64 s[14:15], s[14:15], s[18:19]
	s_andn2_b64 exec, exec, s[12:13]
	s_cbranch_execz .LBB0_209
.LBB0_205:                              ; =>This Inner Loop Header: Depth=1
	s_add_i32 s24, s24, 1
	s_cmpk_lg_i32 s24, 0x2710
	s_cselect_b64 s[18:19], -1, 0
	s_and_b64 vcc, exec, s[18:19]
                                        ; implicit-def: $sgpr22_sgpr23
	s_cbranch_vccnz .LBB0_207
; %bb.206:                              ;   in Loop: Header=BB0_205 Depth=1
	s_trap 2
	ds_read_b64 v[2:3], v0
	s_andn2_b64 s[18:19], s[18:19], exec
	s_mov_b32 s24, 0
	s_mov_b64 s[22:23], -1
	s_waitcnt lgkmcnt(0)
	flat_load_dword v2, v[2:3] glc
	s_waitcnt vmcnt(0) lgkmcnt(0)
	buffer_invl2
	buffer_wbinvl1_vol
	v_cmp_eq_u32_e32 vcc, 0, v2
	s_and_b64 s[20:21], vcc, exec
	s_or_b64 s[18:19], s[18:19], s[20:21]
.LBB0_207:                              ;   in Loop: Header=BB0_205 Depth=1
	s_andn2_b64 s[16:17], s[16:17], exec
	s_and_b64 s[22:23], s[22:23], exec
	s_mov_b64 s[20:21], -1
	s_or_b64 s[16:17], s[16:17], s[22:23]
	s_and_saveexec_b64 s[22:23], s[18:19]
	s_cbranch_execz .LBB0_204
; %bb.208:                              ;   in Loop: Header=BB0_205 Depth=1
	s_sleep 1
	s_trap 2
	ds_read_b64 v[2:3], v0
	s_andn2_b64 s[16:17], s[16:17], exec
	s_waitcnt lgkmcnt(0)
	v_cmp_ge_u64_e32 vcc, v[2:3], v[0:1]
	s_orn2_b64 s[20:21], vcc, exec
	s_branch .LBB0_204
.LBB0_209:
	s_or_b64 exec, exec, s[12:13]
	s_and_saveexec_b64 s[12:13], s[14:15]
	s_xor_b64 s[12:13], exec, s[12:13]
	s_cbranch_execz .LBB0_211
; %bb.210:
	v_mov_b32_e32 v0, 1
	ds_write_b32 v0, v0
	s_trap 2
.LBB0_211:
	s_or_b64 exec, exec, s[10:11]
	;;#ASMSTART
	s_wakeup
	;;#ASMEND
.LBB0_212:
	s_or_b64 exec, exec, s[8:9]
.LBB0_213:
	s_andn2_saveexec_b64 s[6:7], s[6:7]
	s_cbranch_execz .LBB0_215
; %bb.214:
	s_waitcnt vmcnt(0) lgkmcnt(0)
	buffer_wbinvl1_vol
	s_barrier
.LBB0_215:
	s_or_b64 exec, exec, s[4:5]
	buffer_load_dword a37, off, s[0:3], s32 ; 4-byte Folded Reload
	buffer_load_dword a36, off, s[0:3], s32 offset:4 ; 4-byte Folded Reload
	buffer_load_dword a35, off, s[0:3], s32 offset:8 ; 4-byte Folded Reload
	;; [unrolled: 1-line block ×20, first 2 shown]
	v_readlane_b32 s30, v63, 24
	v_readlane_b32 s31, v63, 25
	;; [unrolled: 1-line block ×26, first 2 shown]
	s_or_saveexec_b64 s[4:5], -1
	buffer_load_dword v63, off, s[0:3], s32 offset:84 ; 4-byte Folded Reload
	s_mov_b64 exec, s[4:5]
	s_waitcnt vmcnt(0) lgkmcnt(0)
	s_setpc_b64 s[30:31]
.Lfunc_end0:
	.size	_ZN12_GLOBAL__N_17runRingIj7FuncSumIjE7ProtoLLLi0ELi1ELi0EEEviiP15ncclDevWorkColl, .Lfunc_end0-_ZN12_GLOBAL__N_17runRingIj7FuncSumIjE7ProtoLLLi0ELi1ELi0EEEviiP15ncclDevWorkColl
                                        ; -- End function
	.section	.AMDGPU.csdata,"",@progbits
; Function info:
; codeLenInByte = 7996
; NumSgprs: 62
; NumVgprs: 64
; NumAgprs: 38
; TotalNumVgprs: 102
; ScratchSize: 92
; MemoryBound: 0
	.text
	.p2align	2                               ; -- Begin function _Z47ncclDevFunc_ReduceScatter_RING_LL_Sum_u32_0_0_1v
	.type	_Z47ncclDevFunc_ReduceScatter_RING_LL_Sum_u32_0_0_1v,@function
_Z47ncclDevFunc_ReduceScatter_RING_LL_Sum_u32_0_0_1v: ; @_Z47ncclDevFunc_ReduceScatter_RING_LL_Sum_u32_0_0_1v
; %bb.0:
	s_waitcnt vmcnt(0) expcnt(0) lgkmcnt(0)
	s_mov_b32 s4, s33
	s_mov_b32 s33, s32
	s_or_saveexec_b64 s[6:7], -1
	buffer_store_dword v42, off, s[0:3], s33 offset:12 ; 4-byte Folded Spill
	s_mov_b64 exec, s[6:7]
	v_writelane_b32 v42, s4, 34
	s_addk_i32 s32, 0x800
	buffer_store_dword v40, off, s[0:3], s33 offset:8 ; 4-byte Folded Spill
	buffer_store_dword v41, off, s[0:3], s33 offset:4 ; 4-byte Folded Spill
	buffer_store_dword v63, off, s[0:3], s33 ; 4-byte Folded Spill
	v_writelane_b32 v42, s34, 0
	v_writelane_b32 v42, s35, 1
	v_writelane_b32 v42, s36, 2
	v_writelane_b32 v42, s37, 3
	v_writelane_b32 v42, s38, 4
	v_writelane_b32 v42, s39, 5
	v_writelane_b32 v42, s40, 6
	v_writelane_b32 v42, s41, 7
	v_writelane_b32 v42, s42, 8
	v_writelane_b32 v42, s43, 9
	v_writelane_b32 v42, s44, 10
	v_writelane_b32 v42, s45, 11
	v_writelane_b32 v42, s46, 12
	v_writelane_b32 v42, s47, 13
	v_writelane_b32 v42, s48, 14
	v_writelane_b32 v42, s49, 15
	v_writelane_b32 v42, s50, 16
	v_writelane_b32 v42, s51, 17
	v_writelane_b32 v42, s52, 18
	v_writelane_b32 v42, s53, 19
	v_writelane_b32 v42, s54, 20
	v_writelane_b32 v42, s55, 21
	v_writelane_b32 v42, s56, 22
	v_writelane_b32 v42, s57, 23
	v_writelane_b32 v42, s58, 24
	v_writelane_b32 v42, s59, 25
	v_writelane_b32 v42, s60, 26
	v_writelane_b32 v42, s61, 27
	v_writelane_b32 v42, s62, 28
	v_writelane_b32 v42, s63, 29
	v_writelane_b32 v42, s64, 30
	v_writelane_b32 v42, s65, 31
	v_writelane_b32 v42, s30, 32
	v_writelane_b32 v42, s31, 33
	s_trap 2
	ds_read_b32 v0, v0
	s_mov_b32 s60, s12
	s_mov_b64 s[58:59], s[8:9]
	s_waitcnt lgkmcnt(0)
	v_cmp_gt_i32_e32 vcc, 1, v0
	s_cbranch_vccnz .LBB1_8
; %bb.1:
	s_mov_b32 s61, 0
	v_and_b32_e32 v40, 0x3ff, v31
	s_mov_b64 s[62:63], src_shared_base
	v_mov_b32_e32 v41, 6
	s_branch .LBB1_3
.LBB1_2:                                ;   in Loop: Header=BB1_3 Depth=1
	s_or_b64 exec, exec, s[64:65]
	s_trap 2
	ds_read_b32 v0, v0
	s_add_i32 s61, s61, 1
	s_waitcnt lgkmcnt(0)
	v_cmp_lt_i32_e32 vcc, s61, v0
	s_cbranch_vccz .LBB1_8
.LBB1_3:                                ; =>This Inner Loop Header: Depth=1
	s_trap 2
	ds_read_b32 v0, v0
	s_cmp_eq_u32 s61, 0
	s_cbranch_scc1 .LBB1_6
; %bb.4:                                ;   in Loop: Header=BB1_3 Depth=1
	s_trap 2
	s_waitcnt lgkmcnt(0)
	ds_read_b32 v1, v0
	s_waitcnt lgkmcnt(0)
	v_xor_b32_e32 v1, v1, v0
	v_and_b32_e32 v1, 0xff0000, v1
	v_cmp_eq_u32_e32 vcc, 0, v1
	s_cbranch_vccnz .LBB1_6
; %bb.5:                                ;   in Loop: Header=BB1_3 Depth=1
	s_barrier
	ds_read_b32 v0, v0
.LBB1_6:                                ;   in Loop: Header=BB1_3 Depth=1
	s_waitcnt lgkmcnt(0)
	v_lshlrev_b32_sdwa v1, v41, v0 dst_sel:DWORD dst_unused:UNUSED_PAD src0_sel:DWORD src1_sel:BYTE_2
	v_cmp_lt_u32_e32 vcc, v40, v1
	s_and_saveexec_b64 s[64:65], vcc
	s_cbranch_execz .LBB1_2
; %bb.7:                                ;   in Loop: Header=BB1_3 Depth=1
	s_mov_b64 s[8:9], s[58:59]
	s_mov_b32 s12, s60
	v_mov_b32_e32 v0, v40
	v_mov_b32_e32 v3, s63
	s_getpc_b64 s[4:5]
	s_add_u32 s4, s4, _ZN12_GLOBAL__N_17runRingIj7FuncSumIjE7ProtoLLLi0ELi1ELi0EEEviiP15ncclDevWorkColl@rel32@lo+4
	s_addc_u32 s5, s5, _ZN12_GLOBAL__N_17runRingIj7FuncSumIjE7ProtoLLLi0ELi1ELi0EEEviiP15ncclDevWorkColl@rel32@hi+12
	s_swappc_b64 s[30:31], s[4:5]
	s_branch .LBB1_2
.LBB1_8:
	buffer_load_dword v63, off, s[0:3], s33 ; 4-byte Folded Reload
	buffer_load_dword v41, off, s[0:3], s33 offset:4 ; 4-byte Folded Reload
	buffer_load_dword v40, off, s[0:3], s33 offset:8 ; 4-byte Folded Reload
	v_readlane_b32 s30, v42, 32
	v_readlane_b32 s31, v42, 33
	;; [unrolled: 1-line block ×35, first 2 shown]
	s_or_saveexec_b64 s[6:7], -1
	buffer_load_dword v42, off, s[0:3], s33 offset:12 ; 4-byte Folded Reload
	s_mov_b64 exec, s[6:7]
	s_addk_i32 s32, 0xf800
	s_mov_b32 s33, s4
	s_waitcnt vmcnt(0)
	s_setpc_b64 s[30:31]
.Lfunc_end1:
	.size	_Z47ncclDevFunc_ReduceScatter_RING_LL_Sum_u32_0_0_1v, .Lfunc_end1-_Z47ncclDevFunc_ReduceScatter_RING_LL_Sum_u32_0_0_1v
                                        ; -- End function
	.section	.AMDGPU.csdata,"",@progbits
; Function info:
; codeLenInByte = 900
; NumSgprs: 70
; NumVgprs: 64
; NumAgprs: 38
; TotalNumVgprs: 102
; ScratchSize: 124
; MemoryBound: 0
	.text
	.p2align	2                               ; -- Begin function _ZN12_GLOBAL__N_17runRingIj7FuncSumIjE7ProtoLLLi0ELi2ELi0EEEviiP15ncclDevWorkColl
	.type	_ZN12_GLOBAL__N_17runRingIj7FuncSumIjE7ProtoLLLi0ELi2ELi0EEEviiP15ncclDevWorkColl,@function
_ZN12_GLOBAL__N_17runRingIj7FuncSumIjE7ProtoLLLi0ELi2ELi0EEEviiP15ncclDevWorkColl: ; @_ZN12_GLOBAL__N_17runRingIj7FuncSumIjE7ProtoLLLi0ELi2ELi0EEEviiP15ncclDevWorkColl
; %bb.0:
	s_waitcnt vmcnt(0) expcnt(0) lgkmcnt(0)
	s_or_saveexec_b64 s[4:5], -1
	buffer_store_dword v63, off, s[0:3], s32 offset:84 ; 4-byte Folded Spill
	s_mov_b64 exec, s[4:5]
	buffer_store_dword v40, off, s[0:3], s32 offset:80 ; 4-byte Folded Spill
	buffer_store_dword v41, off, s[0:3], s32 offset:76 ; 4-byte Folded Spill
	;; [unrolled: 1-line block ×20, first 2 shown]
	buffer_store_dword a37, off, s[0:3], s32 ; 4-byte Folded Spill
	v_writelane_b32 v63, s34, 0
	v_writelane_b32 v63, s35, 1
	;; [unrolled: 1-line block ×26, first 2 shown]
	s_trap 2
	flat_load_dword v7, v[2:3]
	flat_load_dwordx4 v[12:15], v[2:3] offset:72
	flat_load_dwordx2 v[8:9], v[2:3] offset:88
	ds_read_b32 v5, v0
	ds_read_b64 v[22:23], v0
	v_mov_b32_e32 v24, v0
	v_mov_b32_e32 v20, v1
                                        ; implicit-def: $agpr4_agpr5
	s_waitcnt lgkmcnt(0)
	v_readfirstlane_b32 s22, v5
	s_waitcnt vmcnt(0)
	v_not_b32_sdwa v6, v7 dst_sel:DWORD dst_unused:UNUSED_PAD src0_sel:BYTE_0
	v_add_u32_sdwa v0, v7, v6 dst_sel:DWORD dst_unused:UNUSED_PAD src0_sel:BYTE_1 src1_sel:DWORD
	v_ashrrev_i32_e32 v1, 31, v0
	v_mul_lo_u32 v4, v15, v0
	v_mad_u64_u32 v[10:11], s[4:5], v14, v0, 0
	v_accvgpr_write_b32 a0, v12
	v_mul_lo_u32 v0, v14, v1
	v_accvgpr_write_b32 a1, v13
	v_accvgpr_write_b32 a2, v14
	;; [unrolled: 1-line block ×3, first 2 shown]
	v_add3_u32 v4, v11, v0, v4
	v_cmp_ne_u32_sdwa s[4:5], v7, v5 src0_sel:BYTE_0 src1_sel:DWORD
                                        ; implicit-def: $vgpr0_vgpr1
	s_and_saveexec_b64 s[6:7], s[4:5]
	s_xor_b64 s[4:5], exec, s[6:7]
	s_cbranch_execz .LBB2_6
; %bb.1:
	v_cmp_ne_u32_sdwa s[6:7], v7, v5 src0_sel:BYTE_1 src1_sel:DWORD
                                        ; implicit-def: $vgpr0_vgpr1
                                        ; implicit-def: $agpr4_agpr5
	s_and_saveexec_b64 s[10:11], s[6:7]
	s_xor_b64 s[6:7], exec, s[10:11]
	s_cbranch_execz .LBB2_3
; %bb.2:
	flat_load_dwordx2 v[0:1], v[2:3] offset:96
	v_add_u32_e32 v5, v5, v6
	v_accvgpr_read_b32 v15, a3
	v_ashrrev_i32_e32 v6, 31, v5
	v_accvgpr_read_b32 v14, a2
	v_accvgpr_read_b32 v13, a1
	;; [unrolled: 1-line block ×3, first 2 shown]
	v_mul_lo_u32 v6, v14, v6
	v_mul_lo_u32 v7, v15, v5
	v_mad_u64_u32 v[12:13], s[10:11], v14, v5, v[12:13]
	v_add3_u32 v13, v7, v13, v6
	v_accvgpr_write_b32 a4, v12
	v_accvgpr_write_b32 a5, v13
	s_waitcnt vmcnt(0) lgkmcnt(0)
	v_lshrrev_b64 v[0:1], 19, v[0:1]
.LBB2_3:
	s_andn2_saveexec_b64 s[6:7], s[6:7]
	s_cbranch_execz .LBB2_5
; %bb.4:
	flat_load_dword v0, v[2:3] offset:100
	v_accvgpr_read_b32 v13, a1
	v_accvgpr_read_b32 v12, a0
	v_add_co_u32_e32 v6, vcc, v10, v12
	v_addc_co_u32_e32 v7, vcc, v4, v13, vcc
	v_accvgpr_write_b32 a4, v6
	v_pk_mov_b32 v[14:15], v[8:9], v[8:9] op_sel:[0,1]
	v_accvgpr_write_b32 a0, v12
	v_accvgpr_write_b32 a5, v7
	v_accvgpr_write_b32 a1, v13
	v_accvgpr_write_b32 a2, v14
	v_accvgpr_write_b32 a3, v15
	s_waitcnt vmcnt(0) lgkmcnt(0)
	v_lshrrev_b32_e32 v0, 8, v0
.LBB2_5:
	s_or_b64 exec, exec, s[6:7]
.LBB2_6:
	s_andn2_saveexec_b64 s[4:5], s[4:5]
	s_cbranch_execz .LBB2_8
; %bb.7:
	flat_load_dwordx2 v[0:1], v[2:3] offset:96
	v_pk_mov_b32 v[6:7], 0, 0
	v_accvgpr_write_b32 a4, v6
	v_accvgpr_mov_b32 a3, a1
	v_accvgpr_write_b32 a5, v7
	v_accvgpr_mov_b32 a2, a0
	s_waitcnt vmcnt(0) lgkmcnt(0)
	v_lshlrev_b64 v[0:1], 2, v[0:1]
.LBB2_8:
	s_or_b64 exec, exec, s[4:5]
	flat_load_ushort v7, v[2:3] offset:8
	flat_load_dword v6, v[2:3] offset:4
	s_load_dword s4, s[8:9], 0x0
	flat_load_dwordx4 a[6:9], v[2:3] offset:16
	v_mov_b32_e32 v3, 0
	v_ashrrev_i32_e32 v25, 31, v24
	v_lshrrev_b32_e32 v1, 26, v25
	s_waitcnt lgkmcnt(0)
	s_cmp_lt_u32 s12, s4
	s_cselect_b32 s4, 12, 18
	s_add_u32 s4, s8, s4
	s_addc_u32 s5, s9, 0
	global_load_ushort v11, v3, s[4:5]
	s_trap 2
	ds_read_b32 v2, v0
	v_add_u32_e32 v1, v24, v1
	v_and_b32_e32 v1, 0xffffffc0, v1
	v_sub_u32_e32 v1, v24, v1
	s_mov_b32 s6, 0
	s_waitcnt lgkmcnt(0)
	v_cmp_gt_i32_e32 vcc, 0, v2
	v_readfirstlane_b32 s8, v2
	s_and_b64 vcc, exec, vcc
	v_pk_mov_b32 v[18:19], 0, 0
	v_cmp_eq_u32_e64 s[4:5], 0, v1
	s_waitcnt vmcnt(0)
	v_lshrrev_b64 v[6:7], 31, v[6:7]
	v_and_b32_e32 v5, 3, v6
	s_cbranch_vccnz .LBB2_10
; %bb.9:
	s_trap 2
	ds_read_b64 v[6:7], v0
	v_lshlrev_b64 v[2:3], 3, v[2:3]
	s_movk_i32 s6, 0xa8
	s_waitcnt lgkmcnt(0)
	v_add_co_u32_e32 v2, vcc, v6, v2
	v_addc_co_u32_e32 v3, vcc, v7, v3, vcc
	flat_load_dwordx2 v[2:3], v[2:3]
	v_and_b32_e32 v6, 0xffff, v5
	s_waitcnt vmcnt(0) lgkmcnt(0)
	v_mad_u64_u32 v[2:3], s[6:7], v6, s6, v[2:3]
	flat_load_dwordx2 a[14:15], v[2:3] offset:504
	flat_load_dwordx2 v[34:35], v[2:3] offset:608
	v_add_co_u32_e32 v2, vcc, 0x1f8, v2
	v_addc_co_u32_e32 v3, vcc, 0, v3, vcc
	v_cndmask_b32_e64 v27, 0, v3, s[4:5]
	v_cndmask_b32_e64 v26, 0, v2, s[4:5]
	s_mov_b32 s6, 1
	s_branch .LBB2_11
.LBB2_10:
	v_pk_mov_b32 v[26:27], v[18:19], v[18:19] op_sel:[0,1]
                                        ; implicit-def: $vgpr34_vgpr35
                                        ; implicit-def: $agpr14_agpr15
.LBB2_11:
	s_trap 2
	ds_read_b32 v2, v0
	s_waitcnt lgkmcnt(0)
	v_cmp_gt_i32_e32 vcc, 0, v2
	s_cbranch_vccnz .LBB2_13
; %bb.12:
	s_trap 2
	ds_read_b64 v[6:7], v0
	v_mov_b32_e32 v3, 0
	v_lshlrev_b64 v[2:3], 3, v[2:3]
	v_and_b32_e32 v5, 0xffff, v5
	s_movk_i32 s4, 0xa8
	s_waitcnt lgkmcnt(0)
	v_add_co_u32_e32 v2, vcc, v6, v2
	v_addc_co_u32_e32 v3, vcc, v7, v3, vcc
	flat_load_dwordx2 v[2:3], v[2:3]
	v_cmp_eq_u32_e32 vcc, 0, v1
	s_waitcnt vmcnt(0) lgkmcnt(0)
	v_mad_u64_u32 v[2:3], s[4:5], v5, s4, v[2:3]
	flat_load_dwordx2 v[36:37], v[2:3]
	flat_load_dwordx2 v[16:17], v[2:3] offset:104
	v_cndmask_b32_e32 v19, 0, v3, vcc
	v_cndmask_b32_e32 v18, 0, v2, vcc
	s_branch .LBB2_14
.LBB2_13:
                                        ; implicit-def: $vgpr16_vgpr17
                                        ; implicit-def: $vgpr36_vgpr37
.LBB2_14:
	v_subrev_u32_e32 v2, 64, v20
	v_pk_mov_b32 v[12:13], 0, 0
	v_cmp_le_i32_e32 vcc, v2, v24
	v_cmp_gt_i32_e64 s[4:5], s6, v1
	v_accvgpr_write_b32 a17, v13
	s_and_b64 s[24:25], vcc, s[4:5]
	v_accvgpr_write_b32 a16, v12
                                        ; implicit-def: $vgpr38_vgpr39
	s_and_saveexec_b64 s[4:5], s[24:25]
	s_cbranch_execz .LBB2_16
; %bb.15:
	flat_load_dwordx2 a[16:17], v[26:27] offset:56
	flat_load_dwordx2 v[38:39], v[26:27] offset:104
.LBB2_16:
	s_or_b64 exec, exec, s[4:5]
	v_cmp_gt_i32_e64 s[4:5], s6, v24
	v_pk_mov_b32 v[50:51], v[12:13], v[12:13] op_sel:[0,1]
                                        ; implicit-def: $vgpr52_vgpr53
	s_and_saveexec_b64 s[6:7], s[4:5]
	s_cbranch_execz .LBB2_18
; %bb.17:
	flat_load_dwordx2 v[50:51], v[18:19] offset:56
	s_waitcnt vmcnt(0) lgkmcnt(0)
	flat_load_dwordx2 v[52:53], v[50:51] glc
	s_waitcnt vmcnt(0)
	flat_load_dwordx4 v[12:15], v[18:19] offset:96
.LBB2_18:
	s_or_b64 exec, exec, s[6:7]
	v_accvgpr_read_b32 v47, a3
	v_accvgpr_read_b32 v46, a2
	v_accvgpr_read_b32 v45, a1
	v_accvgpr_read_b32 v44, a0
	v_cmp_ne_u64_e32 vcc, 0, v[46:47]
	v_pk_mov_b32 v[40:41], 0, 0
	s_and_saveexec_b64 s[26:27], vcc
	s_cbranch_execz .LBB2_192
; %bb.19:
	v_add_co_u32_e32 v1, vcc, v8, v44
	s_ashr_i32 s6, s8, 31
	v_addc_co_u32_e32 v2, vcc, v9, v45, vcc
	s_lshr_b32 s6, s6, 29
	v_add_co_u32_e32 v44, vcc, v1, v10
	s_ashr_i32 s23, s22, 31
	s_add_i32 s8, s8, s6
	v_addc_co_u32_e32 v45, vcc, v2, v4, vcc
	s_lshl_b64 s[6:7], s[22:23], 2
	v_mov_b32_e32 v1, s7
	v_add_co_u32_e32 v2, vcc, s6, v22
	v_addc_co_u32_e32 v1, vcc, v23, v1, vcc
	v_add_co_u32_e32 v2, vcc, -4, v2
	v_addc_co_u32_e32 v3, vcc, -1, v1, vcc
	v_and_b32_e32 v1, 63, v31
	v_ashrrev_i32_e32 v21, 31, v20
	v_cmp_eq_u32_e64 s[12:13], 0, v1
	v_lshrrev_b32_e32 v1, 26, v21
	v_accvgpr_write_b32 a19, v3
	v_add_u32_e32 v1, v20, v1
	v_accvgpr_write_b32 a18, v2
	v_ashrrev_i32_e32 v2, 6, v1
	v_accvgpr_write_b32 a20, v2
	v_ashrrev_i32_e32 v1, 31, v2
	v_lshlrev_b32_e32 v2, 1, v24
	v_ashrrev_i32_e32 v3, 31, v2
	v_accvgpr_write_b32 a0, v11
	v_cmp_ne_u32_sdwa s[30:31], v11, v20 src0_sel:WORD_0 src1_sel:DWORD
	v_accvgpr_write_b32 a22, v2
	v_lshlrev_b64 v[10:11], 2, v[2:3]
	v_accvgpr_read_b32 v2, a6
	v_accvgpr_read_b32 v4, a8
	v_accvgpr_write_b32 a1, v1
	v_accvgpr_read_b32 v5, a9
	v_add_co_u32_e32 v1, vcc, v4, v10
	v_accvgpr_write_b32 a21, v1
	v_addc_co_u32_e32 v1, vcc, v5, v11, vcc
	v_mov_b32_e32 v42, 0
	v_accvgpr_read_b32 v3, a7
	v_accvgpr_write_b32 a23, v1
	v_add_co_u32_e32 v1, vcc, v2, v10
	v_accvgpr_write_b32 a26, v1
	v_addc_co_u32_e32 v1, vcc, v3, v11, vcc
	v_and_b32_e32 v2, 3, v2
	v_mov_b32_e32 v3, v42
	v_cmp_eq_u64_e64 s[16:17], 0, v[2:3]
	v_accvgpr_read_b32 v2, a4
	v_accvgpr_read_b32 v3, a5
	v_lshlrev_b64 v[2:3], 2, v[2:3]
	v_accvgpr_write_b32 a27, v1
	v_add_co_u32_e32 v1, vcc, v2, v10
	v_and_b32_e32 v6, 0x7ffffc, v0
	v_addc_co_u32_e32 v2, vcc, v3, v11, vcc
	v_lshlrev_b32_e32 v0, 2, v0
	v_add_co_u32_e32 v30, vcc, v4, v1
	v_and_b32_e32 v0, 0x1fffff0, v0
	v_addc_co_u32_e32 v33, vcc, v5, v2, vcc
	v_accvgpr_write_b32 a28, v0
	v_lshlrev_b64 v[0:1], 4, v[24:25]
	s_waitcnt vmcnt(0) lgkmcnt(0)
	v_add_co_u32_e32 v0, vcc, v36, v0
	v_mov_b32_e32 v7, v42
	s_ashr_i32 s10, s8, 3
	v_accvgpr_write_b32 a29, v0
	v_addc_co_u32_e32 v0, vcc, v37, v1, vcc
	s_ashr_i32 s54, s8, 7
	s_and_b32 s23, s10, -16
	v_pk_mov_b32 v[8:9], v[6:7], v[6:7] op_sel:[0,1]
	v_lshlrev_b32_e32 v60, 1, v20
	v_accvgpr_read_b32 v6, a16
	v_accvgpr_write_b32 a25, v11
	v_accvgpr_write_b32 a30, v0
	v_lshlrev_b64 v[0:1], 2, v[44:45]
	v_accvgpr_write_b32 a12, v26
	v_accvgpr_write_b32 a10, v18
	v_ashrrev_i32_e32 v61, 31, v60
	s_cmp_gt_i32 s22, 2
	v_accvgpr_read_b32 v7, a17
	v_accvgpr_write_b32 a24, v10
	v_accvgpr_write_b32 a33, v1
	v_pk_mov_b32 v[10:11], 0, 0
	v_accvgpr_write_b32 a13, v27
	v_accvgpr_write_b32 a11, v19
	s_mov_b64 s[28:29], 0
	v_cmp_ne_u64_e64 s[6:7], 0, v[50:51]
	v_cmp_ne_u64_e64 s[8:9], 0, v[12:13]
	v_cmp_ne_u32_e64 s[10:11], 64, v20
	s_cselect_b64 s[34:35], -1, 0
	v_cmp_ne_u64_e64 s[14:15], 0, v[6:7]
	s_movk_i32 s55, 0x2710
	s_mov_b64 s[36:37], 0x7ffffff8
	v_mov_b32_e32 v62, 0
	v_accvgpr_write_b32 a32, v0
	v_lshlrev_b64 v[58:59], 2, v[60:61]
	v_lshlrev_b64 v[28:29], 4, v[20:21]
	v_pk_mov_b32 v[40:41], v[10:11], v[10:11] op_sel:[0,1]
	v_pk_mov_b32 v[4:5], v[46:47], v[46:47] op_sel:[0,1]
	s_branch .LBB2_21
.LBB2_20:                               ;   in Loop: Header=BB2_21 Depth=1
	s_or_b64 exec, exec, s[18:19]
	v_add_co_u32_e32 v34, vcc, 1, v34
	v_addc_co_u32_e32 v35, vcc, 0, v35, vcc
	v_add_co_u32_e32 v10, vcc, v10, v8
	v_addc_co_u32_e32 v11, vcc, 0, v11, vcc
	v_cmp_ge_u64_e32 vcc, v[10:11], v[4:5]
	v_accvgpr_read_b32 v0, a28
	s_or_b64 s[28:29], vcc, s[28:29]
	v_add_co_u32_e32 v30, vcc, v30, v0
	v_addc_co_u32_e32 v33, vcc, 0, v33, vcc
	s_andn2_b64 exec, exec, s[28:29]
	s_cbranch_execz .LBB2_191
.LBB2_21:                               ; =>This Loop Header: Depth=1
                                        ;     Child Loop BB2_28 Depth 2
                                        ;     Child Loop BB2_45 Depth 2
	;; [unrolled: 1-line block ×5, first 2 shown]
                                        ;       Child Loop BB2_83 Depth 3
                                        ;       Child Loop BB2_99 Depth 3
                                        ;       Child Loop BB2_114 Depth 3
                                        ;         Child Loop BB2_120 Depth 4
                                        ;       Child Loop BB2_134 Depth 3
                                        ;       Child Loop BB2_76 Depth 3
                                        ;     Child Loop BB2_149 Depth 2
                                        ;       Child Loop BB2_155 Depth 3
                                        ;     Child Loop BB2_178 Depth 2
	v_accvgpr_read_b32 v0, a18
	v_accvgpr_read_b32 v1, a19
	flat_load_dword v2, v[0:1]
	v_sub_co_u32_e32 v0, vcc, v4, v10
	v_subb_co_u32_e32 v1, vcc, v5, v11, vcc
	v_cmp_lt_u64_e32 vcc, v[8:9], v[0:1]
	v_cndmask_b32_e32 v3, v0, v8, vcc
	v_lshl_add_u32 v0, v3, 3, 8
	v_and_b32_e32 v0, 0x7fffff0, v0
	v_accvgpr_write_b32 a31, v0
	s_and_saveexec_b64 s[18:19], s[6:7]
	s_cbranch_execz .LBB2_37
; %bb.22:                               ;   in Loop: Header=BB2_21 Depth=1
	v_add_co_u32_e32 v0, vcc, 1, v14
	v_addc_co_u32_e32 v1, vcc, 0, v15, vcc
	v_add_co_u32_e32 v4, vcc, 8, v52
	v_addc_co_u32_e32 v5, vcc, 0, v53, vcc
	v_cmp_lt_u64_e32 vcc, v[4:5], v[0:1]
	s_and_saveexec_b64 s[20:21], vcc
	s_cbranch_execz .LBB2_34
; %bb.23:                               ;   in Loop: Header=BB2_21 Depth=1
	s_sleep 1
	flat_load_dwordx2 v[52:53], v[50:51] glc
	v_cmp_eq_u32_e32 vcc, 0, v62
	s_and_saveexec_b64 s[38:39], vcc
	s_cbranch_execz .LBB2_33
; %bb.24:                               ;   in Loop: Header=BB2_21 Depth=1
	v_cndmask_b32_e64 v4, 0, 1, vcc
	s_mov_b64 s[40:41], 0
                                        ; implicit-def: $sgpr42_sgpr43
	s_branch .LBB2_28
.LBB2_25:                               ;   in Loop: Header=BB2_28 Depth=2
	s_or_b64 exec, exec, s[50:51]
	s_orn2_b64 s[48:49], s[48:49], exec
.LBB2_26:                               ;   in Loop: Header=BB2_28 Depth=2
	s_or_b64 exec, exec, s[46:47]
	s_xor_b64 vcc, s[48:49], -1
	s_andn2_b64 s[42:43], s[42:43], exec
	s_and_b64 vcc, vcc, exec
	s_or_b64 s[42:43], s[42:43], vcc
.LBB2_27:                               ;   in Loop: Header=BB2_28 Depth=2
	s_or_b64 exec, exec, s[44:45]
	s_and_b64 vcc, exec, s[42:43]
	s_or_b64 s[40:41], vcc, s[40:41]
	s_andn2_b64 exec, exec, s[40:41]
	s_cbranch_execz .LBB2_32
.LBB2_28:                               ;   Parent Loop BB2_21 Depth=1
                                        ; =>  This Inner Loop Header: Depth=2
	s_waitcnt vmcnt(0) lgkmcnt(0)
	v_add_co_u32_e32 v6, vcc, 8, v52
	v_addc_co_u32_e32 v7, vcc, 0, v53, vcc
	v_cmp_lt_u64_e32 vcc, v[6:7], v[0:1]
	v_mov_b32_e32 v62, 0
	s_or_b64 s[42:43], s[42:43], exec
	s_and_saveexec_b64 s[44:45], vcc
	s_cbranch_execz .LBB2_27
; %bb.29:                               ;   in Loop: Header=BB2_28 Depth=2
	s_sleep 1
	flat_load_dwordx2 v[52:53], v[50:51] glc
	v_add_u32_e32 v4, 1, v4
	v_cmp_eq_u32_e32 vcc, s55, v4
	s_mov_b64 s[48:49], -1
	v_mov_b32_e32 v62, 0
	s_and_saveexec_b64 s[46:47], vcc
	s_cbranch_execz .LBB2_26
; %bb.30:                               ;   in Loop: Header=BB2_28 Depth=2
	s_trap 2
	ds_read_b64 v[4:5], v0
	v_mov_b32_e32 v62, 0
	s_waitcnt vmcnt(0) lgkmcnt(0)
	flat_load_dword v5, v[4:5] glc
	s_waitcnt vmcnt(0) lgkmcnt(0)
	buffer_invl2
	buffer_wbinvl1_vol
	v_mov_b32_e32 v4, 0
	v_cmp_ne_u32_e32 vcc, 0, v5
	s_and_saveexec_b64 s[50:51], vcc
	s_cbranch_execz .LBB2_25
; %bb.31:                               ;   in Loop: Header=BB2_28 Depth=2
	v_mov_b32_e32 v62, 1
	s_xor_b64 s[48:49], exec, -1
	ds_write_b32 v0, v5
	s_trap 2
	s_branch .LBB2_25
.LBB2_32:                               ;   in Loop: Header=BB2_21 Depth=1
	s_or_b64 exec, exec, s[40:41]
.LBB2_33:                               ;   in Loop: Header=BB2_21 Depth=1
	s_or_b64 exec, exec, s[38:39]
.LBB2_34:                               ;   in Loop: Header=BB2_21 Depth=1
	s_or_b64 exec, exec, s[20:21]
	s_and_saveexec_b64 s[20:21], s[8:9]
	s_cbranch_execz .LBB2_36
; %bb.35:                               ;   in Loop: Header=BB2_21 Depth=1
	v_and_b32_e32 v4, 0x7ffffff8, v14
	v_mov_b32_e32 v5, v42
	v_mov_b32_e32 v6, s23
	v_cmp_eq_u64_e32 vcc, s[36:37], v[4:5]
	v_accvgpr_read_b32 v4, a31
	v_cndmask_b32_e32 v4, v4, v6, vcc
	v_and_b32_e32 v6, 7, v14
	v_ashrrev_i32_e32 v5, 31, v4
	v_mad_u64_u32 v[6:7], vcc, v6, 24, v[12:13]
	flat_store_dwordx2 v[6:7], v[4:5] offset:8
	s_waitcnt vmcnt(0)
.LBB2_36:                               ;   in Loop: Header=BB2_21 Depth=1
	s_or_b64 exec, exec, s[20:21]
	v_pk_mov_b32 v[14:15], v[0:1], v[0:1] op_sel:[0,1]
.LBB2_37:                               ;   in Loop: Header=BB2_21 Depth=1
	s_or_b64 exec, exec, s[18:19]
	s_and_saveexec_b64 s[18:19], s[10:11]
	s_cbranch_execz .LBB2_56
; %bb.38:                               ;   in Loop: Header=BB2_21 Depth=1
	s_and_saveexec_b64 s[20:21], s[30:31]
	s_xor_b64 s[20:21], exec, s[20:21]
	s_cbranch_execz .LBB2_53
; %bb.39:                               ;   in Loop: Header=BB2_21 Depth=1
	s_and_saveexec_b64 s[38:39], s[12:13]
	s_cbranch_execz .LBB2_52
; %bb.40:                               ;   in Loop: Header=BB2_21 Depth=1
	s_mov_b64 s[42:43], exec
	v_mbcnt_lo_u32_b32 v0, s42, 0
	v_mbcnt_hi_u32_b32 v0, s43, v0
	v_cmp_eq_u32_e32 vcc, 0, v0
	s_waitcnt vmcnt(0) lgkmcnt(0)
	buffer_wbinvl1_vol
	s_and_saveexec_b64 s[40:41], vcc
	s_cbranch_execz .LBB2_42
; %bb.41:                               ;   in Loop: Header=BB2_21 Depth=1
	s_bcnt1_i32_b64 vcc_lo, s[42:43]
	v_mov_b32_e32 v0, vcc_lo
	v_mov_b32_e32 v1, v42
	ds_add_u64 v0, v[0:1]
	s_trap 2
.LBB2_42:                               ;   in Loop: Header=BB2_21 Depth=1
	s_or_b64 exec, exec, s[40:41]
	s_trap 2
	ds_read_b64 v[0:1], v0
	v_accvgpr_read_b32 v4, a20
	v_add_co_u32_e32 v40, vcc, v40, v4
	v_accvgpr_read_b32 v5, a1
	v_addc_co_u32_e32 v41, vcc, v41, v5, vcc
	s_waitcnt lgkmcnt(0)
	v_cmp_lt_u64_e32 vcc, v[0:1], v[40:41]
	s_and_saveexec_b64 s[40:41], vcc
	s_cbranch_execz .LBB2_51
; %bb.43:                               ;   in Loop: Header=BB2_21 Depth=1
	s_mov_b32 s52, 0
	s_mov_b64 s[42:43], 0
                                        ; implicit-def: $sgpr44_sgpr45
                                        ; implicit-def: $sgpr46_sgpr47
	s_branch .LBB2_45
.LBB2_44:                               ;   in Loop: Header=BB2_45 Depth=2
	s_or_b64 exec, exec, s[50:51]
	s_and_b64 vcc, exec, vcc
	s_or_b64 s[42:43], vcc, s[42:43]
	s_andn2_b64 vcc, s[44:45], exec
	s_and_b64 s[44:45], s[46:47], exec
	s_or_b64 s[44:45], vcc, s[44:45]
	s_andn2_b64 exec, exec, s[42:43]
	s_cbranch_execz .LBB2_49
.LBB2_45:                               ;   Parent Loop BB2_21 Depth=1
                                        ; =>  This Inner Loop Header: Depth=2
	s_add_i32 s52, s52, 1
	s_cmpk_lg_i32 s52, 0x2710
	s_cselect_b64 s[48:49], -1, 0
	s_and_b64 vcc, exec, s[48:49]
                                        ; implicit-def: $sgpr50_sgpr51
	s_cbranch_vccnz .LBB2_47
; %bb.46:                               ;   in Loop: Header=BB2_45 Depth=2
	s_trap 2
	ds_read_b64 v[0:1], v0
	s_andn2_b64 s[48:49], s[48:49], exec
	s_mov_b32 s52, 0
	s_mov_b64 s[50:51], -1
	s_waitcnt lgkmcnt(0)
	flat_load_dword v0, v[0:1] glc
	s_waitcnt vmcnt(0) lgkmcnt(0)
	buffer_invl2
	buffer_wbinvl1_vol
	v_cmp_eq_u32_e32 vcc, 0, v0
	s_and_b64 vcc, vcc, exec
	s_or_b64 s[48:49], s[48:49], vcc
.LBB2_47:                               ;   in Loop: Header=BB2_45 Depth=2
	s_andn2_b64 s[46:47], s[46:47], exec
	s_and_b64 s[50:51], s[50:51], exec
	s_mov_b64 vcc, -1
	s_or_b64 s[46:47], s[46:47], s[50:51]
	s_and_saveexec_b64 s[50:51], s[48:49]
	s_cbranch_execz .LBB2_44
; %bb.48:                               ;   in Loop: Header=BB2_45 Depth=2
	s_sleep 1
	s_trap 2
	ds_read_b64 v[0:1], v0
	s_andn2_b64 s[46:47], s[46:47], exec
	s_waitcnt lgkmcnt(0)
	v_cmp_ge_u64_e32 vcc, v[0:1], v[40:41]
	s_orn2_b64 vcc, vcc, exec
	s_branch .LBB2_44
.LBB2_49:                               ;   in Loop: Header=BB2_21 Depth=1
	s_or_b64 exec, exec, s[42:43]
	s_and_saveexec_b64 vcc, s[44:45]
	s_xor_b64 vcc, exec, vcc
	s_cbranch_execz .LBB2_51
; %bb.50:                               ;   in Loop: Header=BB2_21 Depth=1
	v_mov_b32_e32 v0, 1
	ds_write_b32 v0, v0
	s_trap 2
.LBB2_51:                               ;   in Loop: Header=BB2_21 Depth=1
	s_or_b64 exec, exec, s[40:41]
	;;#ASMSTART
	s_wakeup
	;;#ASMEND
.LBB2_52:                               ;   in Loop: Header=BB2_21 Depth=1
	s_or_b64 exec, exec, s[38:39]
.LBB2_53:                               ;   in Loop: Header=BB2_21 Depth=1
	s_andn2_saveexec_b64 s[20:21], s[20:21]
	s_cbranch_execz .LBB2_55
; %bb.54:                               ;   in Loop: Header=BB2_21 Depth=1
	s_waitcnt vmcnt(0) lgkmcnt(0)
	buffer_wbinvl1_vol
	s_barrier
.LBB2_55:                               ;   in Loop: Header=BB2_21 Depth=1
	s_or_b64 exec, exec, s[20:21]
.LBB2_56:                               ;   in Loop: Header=BB2_21 Depth=1
	s_or_b64 exec, exec, s[18:19]
	v_accvgpr_read_b32 v0, a22
	v_accvgpr_write_b32 a35, v11
	v_accvgpr_write_b32 a6, v8
	v_sub_u32_e32 v32, v3, v0
	v_accvgpr_write_b32 a34, v10
	v_accvgpr_write_b32 a7, v9
	v_cmp_lt_i32_e64 s[18:19], 0, v32
	v_and_b32_e32 v1, 7, v16
	v_mov_b32_e32 v0, v24
	s_and_saveexec_b64 s[20:21], s[18:19]
	s_cbranch_execz .LBB2_62
; %bb.57:                               ;   in Loop: Header=BB2_21 Depth=1
	v_accvgpr_read_b32 v8, a32
	s_waitcnt vmcnt(0) lgkmcnt(0)
	v_ashrrev_i32_e32 v0, 31, v2
	v_mul_lo_u32 v4, v1, s54
	v_mov_b32_e32 v3, v16
	v_add_co_u32_e64 v6, vcc, 0, 0
	v_accvgpr_read_b32 v9, a33
	v_ashrrev_i32_e32 v5, 31, v4
	v_addc_co_u32_e32 v3, vcc, 1, v3, vcc
	v_mul_lo_u32 v7, v9, v2
	v_mul_lo_u32 v0, v8, v0
	v_mad_u64_u32 v[10:11], vcc, v8, v2, 0
	v_add3_u32 v11, v11, v0, v7
	v_lshlrev_b64 v[4:5], 4, v[4:5]
	v_accvgpr_read_b32 v0, a29
	v_add_co_u32_e32 v18, vcc, v0, v4
	v_accvgpr_read_b32 v0, a30
	v_addc_co_u32_e32 v19, vcc, v0, v5, vcc
	s_mov_b64 s[38:39], 0
	v_mov_b32_e32 v7, v32
	v_mov_b32_e32 v0, v24
                                        ; implicit-def: $vgpr8_vgpr9
	s_branch .LBB2_59
.LBB2_58:                               ;   in Loop: Header=BB2_59 Depth=2
	s_or_b64 exec, exec, s[40:41]
	v_add_co_u32_e32 v10, vcc, v10, v58
	s_waitcnt vmcnt(0)
	v_mov_b32_e32 v4, v9
	v_sub_u32_e32 v7, v7, v60
	v_addc_co_u32_e32 v11, vcc, v11, v59, vcc
	v_or_b32_e32 v2, v6, v2
	v_or_b32_e32 v4, v4, v6
	v_mov_b32_e32 v5, v3
	v_cmp_gt_i32_e32 vcc, 1, v7
	global_store_dwordx4 v[18:19], v[2:5], off
	s_or_b64 s[38:39], vcc, s[38:39]
	v_add_co_u32_e32 v18, vcc, v18, v28
	v_add_u32_e32 v0, v0, v20
	v_addc_co_u32_e32 v19, vcc, v19, v29, vcc
	s_andn2_b64 exec, exec, s[38:39]
	s_cbranch_execz .LBB2_61
.LBB2_59:                               ;   Parent Loop BB2_21 Depth=1
                                        ; =>  This Inner Loop Header: Depth=2
	v_add_co_u32_e32 v4, vcc, v30, v10
	v_addc_co_u32_e32 v5, vcc, v33, v11, vcc
	global_load_dword v2, v[4:5], off glc slc
	v_cmp_ne_u32_e32 vcc, 1, v7
	s_and_saveexec_b64 s[40:41], vcc
	s_cbranch_execz .LBB2_58
; %bb.60:                               ;   in Loop: Header=BB2_59 Depth=2
	global_load_dword v9, v[4:5], off offset:4 glc slc
	s_branch .LBB2_58
.LBB2_61:                               ;   in Loop: Header=BB2_21 Depth=1
	s_or_b64 exec, exec, s[38:39]
.LBB2_62:                               ;   in Loop: Header=BB2_21 Depth=1
	s_or_b64 exec, exec, s[20:21]
	s_waitcnt vmcnt(0) lgkmcnt(0)
	v_and_b32_e32 v2, 0x7ffffff8, v16
	v_mov_b32_e32 v3, v42
	v_cmp_eq_u64_e32 vcc, s[36:37], v[2:3]
	v_cmp_gt_i32_e64 s[20:21], s54, v0
	s_and_b64 s[20:21], vcc, s[20:21]
	s_and_saveexec_b64 s[38:39], s[20:21]
	s_cbranch_execz .LBB2_65
; %bb.63:                               ;   in Loop: Header=BB2_21 Depth=1
	v_mul_lo_u32 v4, v1, s54
	v_mov_b32_e32 v1, v16
	v_add_co_u32_e64 v2, vcc, 0, 0
	v_ashrrev_i32_e32 v5, 31, v4
	v_addc_co_u32_e32 v3, vcc, 1, v1, vcc
	v_ashrrev_i32_e32 v1, 31, v0
	v_lshlrev_b64 v[6:7], 4, v[0:1]
	v_lshlrev_b64 v[4:5], 4, v[4:5]
	v_add_co_u32_e32 v1, vcc, v6, v4
	v_addc_co_u32_e32 v4, vcc, v7, v5, vcc
	v_add_co_u32_e32 v10, vcc, v36, v1
	v_addc_co_u32_e32 v11, vcc, v37, v4, vcc
	s_mov_b64 s[40:41], 0
.LBB2_64:                               ;   Parent Loop BB2_21 Depth=1
                                        ; =>  This Inner Loop Header: Depth=2
	v_mov_b32_e32 v4, v2
	v_mov_b32_e32 v5, v3
	v_add_u32_e32 v0, v0, v20
	global_store_dwordx4 v[10:11], v[2:5], off
	v_cmp_le_i32_e32 vcc, s54, v0
	v_add_co_u32_e64 v10, s[20:21], v10, v28
	s_or_b64 s[40:41], vcc, s[40:41]
	v_addc_co_u32_e64 v11, vcc, v11, v29, s[20:21]
	s_andn2_b64 exec, exec, s[40:41]
	s_cbranch_execnz .LBB2_64
.LBB2_65:                               ;   in Loop: Header=BB2_21 Depth=1
	s_or_b64 exec, exec, s[38:39]
	v_accvgpr_read_b32 v0, a4
	v_accvgpr_read_b32 v2, a34
	v_accvgpr_read_b32 v1, a5
	v_accvgpr_read_b32 v3, a35
	v_add_co_u32_e32 v0, vcc, v2, v0
	v_addc_co_u32_e32 v1, vcc, v3, v1, vcc
	v_add_co_u32_e32 v10, vcc, 1, v16
	v_addc_co_u32_e32 v11, vcc, 0, v17, vcc
	s_andn2_b64 vcc, exec, s[34:35]
	v_lshlrev_b64 v[6:7], 2, v[0:1]
	s_cbranch_vccnz .LBB2_145
; %bb.66:                               ;   in Loop: Header=BB2_21 Depth=1
	v_accvgpr_read_b32 v0, a21
	v_add_co_u32_e32 v43, vcc, v0, v6
	v_accvgpr_read_b32 v0, a23
	v_accvgpr_write_b32 a37, v7
	s_mov_b32 s56, 2
	v_accvgpr_write_b32 a36, v6
	v_addc_co_u32_e32 v25, vcc, v0, v7, vcc
	v_add_u16_e32 v6, 1, v16
	s_branch .LBB2_68
.LBB2_67:                               ;   in Loop: Header=BB2_68 Depth=2
	s_or_b64 exec, exec, s[38:39]
	v_add_co_u32_e32 v34, vcc, 1, v34
	v_addc_co_u32_e32 v35, vcc, 0, v35, vcc
	s_add_i32 s56, s56, 1
	v_add_co_u32_e32 v10, vcc, 1, v10
	v_addc_co_u32_e32 v11, vcc, 0, v11, vcc
	s_cmp_eq_u32 s56, s22
	v_add_u16_e32 v6, 1, v6
	s_cbranch_scc1 .LBB2_146
.LBB2_68:                               ;   Parent Loop BB2_21 Depth=1
                                        ; =>  This Loop Header: Depth=2
                                        ;       Child Loop BB2_83 Depth 3
                                        ;       Child Loop BB2_99 Depth 3
	;; [unrolled: 1-line block ×3, first 2 shown]
                                        ;         Child Loop BB2_120 Depth 4
                                        ;       Child Loop BB2_134 Depth 3
                                        ;       Child Loop BB2_76 Depth 3
	s_sub_i32 s20, s22, s56
	s_ashr_i32 s21, s20, 31
	s_lshl_b64 s[20:21], s[20:21], 2
	v_mov_b32_e32 v1, s21
	v_add_co_u32_e32 v0, vcc, s20, v22
	v_addc_co_u32_e32 v1, vcc, v23, v1, vcc
	flat_load_dword v2, v[0:1]
	s_and_saveexec_b64 s[20:21], s[6:7]
	s_cbranch_execnz .LBB2_77
; %bb.69:                               ;   in Loop: Header=BB2_68 Depth=2
	s_or_b64 exec, exec, s[20:21]
	s_and_saveexec_b64 s[20:21], s[10:11]
	s_cbranch_execnz .LBB2_92
.LBB2_70:                               ;   in Loop: Header=BB2_68 Depth=2
	s_or_b64 exec, exec, s[20:21]
	v_mov_b32_e32 v0, v24
	s_and_saveexec_b64 s[38:39], s[18:19]
	s_cbranch_execnz .LBB2_110
.LBB2_71:                               ;   in Loop: Header=BB2_68 Depth=2
	s_or_b64 exec, exec, s[38:39]
	s_and_saveexec_b64 s[20:21], s[10:11]
	s_cbranch_execnz .LBB2_127
.LBB2_72:                               ;   in Loop: Header=BB2_68 Depth=2
	s_or_b64 exec, exec, s[20:21]
	s_and_saveexec_b64 s[20:21], s[14:15]
	s_cbranch_execz .LBB2_74
.LBB2_73:                               ;   in Loop: Header=BB2_68 Depth=2
	v_add_co_u32_e32 v38, vcc, 1, v38
	s_waitcnt vmcnt(0) lgkmcnt(0)
	v_accvgpr_read_b32 v2, a16
	v_addc_co_u32_e32 v39, vcc, 0, v39, vcc
	v_accvgpr_read_b32 v3, a17
	flat_store_dwordx2 v[2:3], v[38:39]
.LBB2_74:                               ;   in Loop: Header=BB2_68 Depth=2
	s_or_b64 exec, exec, s[20:21]
	s_waitcnt vmcnt(0) lgkmcnt(0)
	v_and_b32_e32 v2, 0x7ffffff8, v10
	v_mov_b32_e32 v3, v42
	v_cmp_eq_u64_e32 vcc, s[36:37], v[2:3]
	v_cmp_gt_i32_e64 s[20:21], s54, v0
	s_and_b64 s[20:21], vcc, s[20:21]
	s_and_saveexec_b64 s[38:39], s[20:21]
	s_cbranch_execz .LBB2_67
; %bb.75:                               ;   in Loop: Header=BB2_68 Depth=2
	v_and_b32_e32 v1, 7, v6
	v_mul_lo_u32 v2, s54, v1
	v_ashrrev_i32_e32 v3, 31, v2
	v_lshlrev_b64 v[4:5], 4, v[2:3]
	v_mov_b32_e32 v1, v10
	v_add_co_u32_e64 v2, vcc, 0, 0
	v_addc_co_u32_e32 v3, vcc, 1, v1, vcc
	v_ashrrev_i32_e32 v1, 31, v0
	v_lshlrev_b64 v[16:17], 4, v[0:1]
	v_add_co_u32_e32 v1, vcc, v16, v4
	v_addc_co_u32_e32 v4, vcc, v17, v5, vcc
	v_add_co_u32_e32 v16, vcc, v36, v1
	v_addc_co_u32_e32 v17, vcc, v37, v4, vcc
	s_mov_b64 s[40:41], 0
.LBB2_76:                               ;   Parent Loop BB2_21 Depth=1
                                        ;     Parent Loop BB2_68 Depth=2
                                        ; =>    This Inner Loop Header: Depth=3
	v_mov_b32_e32 v4, v2
	v_mov_b32_e32 v5, v3
	v_add_u32_e32 v0, v0, v20
	global_store_dwordx4 v[16:17], v[2:5], off
	v_cmp_le_i32_e32 vcc, s54, v0
	v_add_co_u32_e64 v16, s[20:21], v16, v28
	s_or_b64 s[40:41], vcc, s[40:41]
	v_addc_co_u32_e64 v17, vcc, v17, v29, s[20:21]
	s_andn2_b64 exec, exec, s[40:41]
	s_cbranch_execnz .LBB2_76
	s_branch .LBB2_67
.LBB2_77:                               ;   in Loop: Header=BB2_68 Depth=2
	v_add_co_u32_e32 v0, vcc, 1, v14
	v_addc_co_u32_e32 v1, vcc, 0, v15, vcc
	v_add_co_u32_e32 v4, vcc, 8, v52
	v_addc_co_u32_e32 v5, vcc, 0, v53, vcc
	v_cmp_lt_u64_e32 vcc, v[4:5], v[0:1]
	s_and_saveexec_b64 s[38:39], vcc
	s_cbranch_execz .LBB2_89
; %bb.78:                               ;   in Loop: Header=BB2_68 Depth=2
	s_sleep 1
	flat_load_dwordx2 v[52:53], v[50:51] glc
	v_cmp_eq_u32_e32 vcc, 0, v62
	s_and_saveexec_b64 s[40:41], vcc
	s_cbranch_execz .LBB2_88
; %bb.79:                               ;   in Loop: Header=BB2_68 Depth=2
	v_cndmask_b32_e64 v3, 0, 1, vcc
	s_mov_b64 s[42:43], 0
                                        ; implicit-def: $sgpr44_sgpr45
	s_branch .LBB2_83
.LBB2_80:                               ;   in Loop: Header=BB2_83 Depth=3
	s_or_b64 exec, exec, s[52:53]
	s_orn2_b64 s[50:51], s[50:51], exec
.LBB2_81:                               ;   in Loop: Header=BB2_83 Depth=3
	s_or_b64 exec, exec, s[48:49]
	s_xor_b64 vcc, s[50:51], -1
	s_andn2_b64 s[44:45], s[44:45], exec
	s_and_b64 vcc, vcc, exec
	s_or_b64 s[44:45], s[44:45], vcc
.LBB2_82:                               ;   in Loop: Header=BB2_83 Depth=3
	s_or_b64 exec, exec, s[46:47]
	s_and_b64 vcc, exec, s[44:45]
	s_or_b64 s[42:43], vcc, s[42:43]
	s_andn2_b64 exec, exec, s[42:43]
	s_cbranch_execz .LBB2_87
.LBB2_83:                               ;   Parent Loop BB2_21 Depth=1
                                        ;     Parent Loop BB2_68 Depth=2
                                        ; =>    This Inner Loop Header: Depth=3
	s_waitcnt vmcnt(0) lgkmcnt(0)
	v_add_co_u32_e32 v4, vcc, 8, v52
	v_addc_co_u32_e32 v5, vcc, 0, v53, vcc
	v_cmp_lt_u64_e32 vcc, v[4:5], v[0:1]
	v_mov_b32_e32 v62, 0
	s_or_b64 s[44:45], s[44:45], exec
	s_and_saveexec_b64 s[46:47], vcc
	s_cbranch_execz .LBB2_82
; %bb.84:                               ;   in Loop: Header=BB2_83 Depth=3
	s_sleep 1
	flat_load_dwordx2 v[52:53], v[50:51] glc
	v_add_u32_e32 v3, 1, v3
	v_cmp_eq_u32_e32 vcc, s55, v3
	s_mov_b64 s[50:51], -1
	v_mov_b32_e32 v62, 0
	s_and_saveexec_b64 s[48:49], vcc
	s_cbranch_execz .LBB2_81
; %bb.85:                               ;   in Loop: Header=BB2_83 Depth=3
	s_trap 2
	ds_read_b64 v[4:5], v0
	v_mov_b32_e32 v3, 0
	v_mov_b32_e32 v62, 0
	s_waitcnt vmcnt(0) lgkmcnt(0)
	flat_load_dword v4, v[4:5] glc
	s_waitcnt vmcnt(0) lgkmcnt(0)
	buffer_invl2
	buffer_wbinvl1_vol
	v_cmp_ne_u32_e32 vcc, 0, v4
	s_and_saveexec_b64 s[52:53], vcc
	s_cbranch_execz .LBB2_80
; %bb.86:                               ;   in Loop: Header=BB2_83 Depth=3
	v_mov_b32_e32 v62, 1
	s_xor_b64 s[50:51], exec, -1
	ds_write_b32 v0, v4
	s_trap 2
	s_branch .LBB2_80
.LBB2_87:                               ;   in Loop: Header=BB2_68 Depth=2
	s_or_b64 exec, exec, s[42:43]
.LBB2_88:                               ;   in Loop: Header=BB2_68 Depth=2
	s_or_b64 exec, exec, s[40:41]
.LBB2_89:                               ;   in Loop: Header=BB2_68 Depth=2
	s_or_b64 exec, exec, s[38:39]
	s_and_saveexec_b64 s[38:39], s[8:9]
	s_cbranch_execz .LBB2_91
; %bb.90:                               ;   in Loop: Header=BB2_68 Depth=2
	v_and_b32_e32 v4, 0x7ffffff8, v14
	v_mov_b32_e32 v5, v42
	v_mov_b32_e32 v3, s23
	v_cmp_eq_u64_e32 vcc, s[36:37], v[4:5]
	v_accvgpr_read_b32 v4, a31
	v_cndmask_b32_e32 v4, v4, v3, vcc
	v_and_b32_e32 v3, 7, v14
	v_ashrrev_i32_e32 v5, 31, v4
	v_mad_u64_u32 v[14:15], vcc, v3, 24, v[12:13]
	flat_store_dwordx2 v[14:15], v[4:5] offset:8
	s_waitcnt vmcnt(0)
.LBB2_91:                               ;   in Loop: Header=BB2_68 Depth=2
	s_or_b64 exec, exec, s[38:39]
	v_pk_mov_b32 v[14:15], v[0:1], v[0:1] op_sel:[0,1]
	s_or_b64 exec, exec, s[20:21]
	s_and_saveexec_b64 s[20:21], s[10:11]
	s_cbranch_execz .LBB2_70
.LBB2_92:                               ;   in Loop: Header=BB2_68 Depth=2
	s_and_saveexec_b64 vcc, s[30:31]
	s_xor_b64 s[38:39], exec, vcc
	s_cbranch_execz .LBB2_107
; %bb.93:                               ;   in Loop: Header=BB2_68 Depth=2
	s_and_saveexec_b64 s[40:41], s[12:13]
	s_cbranch_execz .LBB2_106
; %bb.94:                               ;   in Loop: Header=BB2_68 Depth=2
	s_mov_b64 s[44:45], exec
	v_mbcnt_lo_u32_b32 v0, s44, 0
	v_mbcnt_hi_u32_b32 v0, s45, v0
	v_cmp_eq_u32_e32 vcc, 0, v0
	s_waitcnt vmcnt(0) lgkmcnt(0)
	buffer_wbinvl1_vol
	s_and_saveexec_b64 s[42:43], vcc
	s_cbranch_execz .LBB2_96
; %bb.95:                               ;   in Loop: Header=BB2_68 Depth=2
	s_bcnt1_i32_b64 vcc_lo, s[44:45]
	v_mov_b32_e32 v0, vcc_lo
	v_mov_b32_e32 v1, v42
	ds_add_u64 v0, v[0:1]
	s_trap 2
.LBB2_96:                               ;   in Loop: Header=BB2_68 Depth=2
	s_or_b64 exec, exec, s[42:43]
	s_trap 2
	ds_read_b64 v[0:1], v0
	v_accvgpr_read_b32 v4, a20
	v_add_co_u32_e32 v40, vcc, v40, v4
	v_accvgpr_read_b32 v3, a1
	v_addc_co_u32_e32 v41, vcc, v41, v3, vcc
	s_waitcnt lgkmcnt(0)
	v_cmp_lt_u64_e32 vcc, v[0:1], v[40:41]
	s_and_saveexec_b64 s[42:43], vcc
	s_cbranch_execz .LBB2_105
; %bb.97:                               ;   in Loop: Header=BB2_68 Depth=2
	s_mov_b32 s57, 0
	s_mov_b64 s[44:45], 0
                                        ; implicit-def: $sgpr46_sgpr47
                                        ; implicit-def: $sgpr48_sgpr49
	s_branch .LBB2_99
.LBB2_98:                               ;   in Loop: Header=BB2_99 Depth=3
	s_or_b64 exec, exec, s[52:53]
	s_and_b64 vcc, exec, vcc
	s_or_b64 s[44:45], vcc, s[44:45]
	s_andn2_b64 vcc, s[46:47], exec
	s_and_b64 s[46:47], s[48:49], exec
	s_or_b64 s[46:47], vcc, s[46:47]
	s_andn2_b64 exec, exec, s[44:45]
	s_cbranch_execz .LBB2_103
.LBB2_99:                               ;   Parent Loop BB2_21 Depth=1
                                        ;     Parent Loop BB2_68 Depth=2
                                        ; =>    This Inner Loop Header: Depth=3
	s_add_i32 s57, s57, 1
	s_cmpk_lg_i32 s57, 0x2710
	s_cselect_b64 s[50:51], -1, 0
	s_and_b64 vcc, exec, s[50:51]
                                        ; implicit-def: $sgpr52_sgpr53
	s_cbranch_vccnz .LBB2_101
; %bb.100:                              ;   in Loop: Header=BB2_99 Depth=3
	s_trap 2
	ds_read_b64 v[0:1], v0
	s_andn2_b64 s[50:51], s[50:51], exec
	s_mov_b32 s57, 0
	s_mov_b64 s[52:53], -1
	s_waitcnt lgkmcnt(0)
	flat_load_dword v0, v[0:1] glc
	s_waitcnt vmcnt(0) lgkmcnt(0)
	buffer_invl2
	buffer_wbinvl1_vol
	v_cmp_eq_u32_e32 vcc, 0, v0
	s_and_b64 vcc, vcc, exec
	s_or_b64 s[50:51], s[50:51], vcc
.LBB2_101:                              ;   in Loop: Header=BB2_99 Depth=3
	s_andn2_b64 s[48:49], s[48:49], exec
	s_and_b64 s[52:53], s[52:53], exec
	s_mov_b64 vcc, -1
	s_or_b64 s[48:49], s[48:49], s[52:53]
	s_and_saveexec_b64 s[52:53], s[50:51]
	s_cbranch_execz .LBB2_98
; %bb.102:                              ;   in Loop: Header=BB2_99 Depth=3
	s_sleep 1
	s_trap 2
	ds_read_b64 v[0:1], v0
	s_andn2_b64 s[48:49], s[48:49], exec
	s_waitcnt lgkmcnt(0)
	v_cmp_ge_u64_e32 vcc, v[0:1], v[40:41]
	s_orn2_b64 vcc, vcc, exec
	s_branch .LBB2_98
.LBB2_103:                              ;   in Loop: Header=BB2_68 Depth=2
	s_or_b64 exec, exec, s[44:45]
	s_and_saveexec_b64 vcc, s[46:47]
	s_xor_b64 vcc, exec, vcc
	s_cbranch_execz .LBB2_105
; %bb.104:                              ;   in Loop: Header=BB2_68 Depth=2
	v_mov_b32_e32 v0, 1
	ds_write_b32 v0, v0
	s_trap 2
.LBB2_105:                              ;   in Loop: Header=BB2_68 Depth=2
	s_or_b64 exec, exec, s[42:43]
	;;#ASMSTART
	s_wakeup
	;;#ASMEND
.LBB2_106:                              ;   in Loop: Header=BB2_68 Depth=2
	s_or_b64 exec, exec, s[40:41]
.LBB2_107:                              ;   in Loop: Header=BB2_68 Depth=2
	s_andn2_saveexec_b64 vcc, s[38:39]
	s_cbranch_execz .LBB2_109
; %bb.108:                              ;   in Loop: Header=BB2_68 Depth=2
	s_waitcnt vmcnt(0) lgkmcnt(0)
	buffer_wbinvl1_vol
	s_barrier
.LBB2_109:                              ;   in Loop: Header=BB2_68 Depth=2
	s_or_b64 exec, exec, vcc
	s_or_b64 exec, exec, s[20:21]
	v_mov_b32_e32 v0, v24
	s_and_saveexec_b64 s[38:39], s[18:19]
	s_cbranch_execz .LBB2_71
.LBB2_110:                              ;   in Loop: Header=BB2_68 Depth=2
	s_waitcnt vmcnt(0) lgkmcnt(0)
	v_ashrrev_i32_e32 v0, 31, v2
	v_mul_lo_u32 v3, v45, v2
	v_mul_lo_u32 v4, v44, v0
	v_mad_u64_u32 v[0:1], s[20:21], v44, v2, 0
	v_add3_u32 v1, v1, v4, v3
	v_lshlrev_b64 v[0:1], 2, v[0:1]
	v_add_co_u32_e32 v56, vcc, v43, v0
	v_and_b32_e32 v0, 7, v34
	v_mul_lo_u32 v0, v0, s54
	v_addc_co_u32_e32 v57, vcc, v25, v1, vcc
	v_ashrrev_i32_e32 v1, 31, v0
	v_lshlrev_b64 v[0:1], 4, v[0:1]
	v_accvgpr_read_b32 v2, a14
	v_add_co_u32_e32 v7, vcc, v2, v0
	v_and_b32_e32 v0, 7, v10
	v_accvgpr_read_b32 v3, a15
	v_mul_lo_u32 v0, v0, s54
	v_addc_co_u32_e32 v21, vcc, v3, v1, vcc
	v_ashrrev_i32_e32 v1, 31, v0
	v_lshlrev_b64 v[0:1], 4, v[0:1]
	v_add_co_u32_e32 v47, vcc, v36, v0
	v_addc_co_u32_e32 v48, vcc, v37, v1, vcc
	v_mov_b32_e32 v1, v10
	v_add_co_u32_e64 v49, vcc, 0, 0
	v_add_u32_e32 v46, 1, v34
	v_addc_co_u32_e32 v3, vcc, 1, v1, vcc
	s_mov_b64 s[40:41], 0
	v_mov_b32_e32 v61, v32
	v_mov_b32_e32 v0, v24
                                        ; implicit-def: $vgpr54_vgpr55
	s_branch .LBB2_114
.LBB2_111:                              ;   in Loop: Header=BB2_114 Depth=3
	s_or_b64 exec, exec, s[46:47]
.LBB2_112:                              ;   in Loop: Header=BB2_114 Depth=3
	s_or_b64 exec, exec, s[44:45]
.LBB2_113:                              ;   in Loop: Header=BB2_114 Depth=3
	s_or_b64 exec, exec, s[42:43]
	v_add_co_u32_e32 v56, vcc, v56, v58
	v_addc_co_u32_e32 v57, vcc, v57, v59, vcc
	s_waitcnt vmcnt(0)
	v_add_u32_e32 v1, v16, v2
	v_add_co_u32_e32 v16, vcc, v47, v4
	v_addc_co_u32_e32 v17, vcc, v48, v5, vcc
	v_sub_u32_e32 v61, v61, v60
	v_or_b32_e32 v2, v49, v1
	v_add_u32_e32 v1, v18, v55
	v_cmp_gt_i32_e32 vcc, 1, v61
	v_or_b32_e32 v4, v49, v1
	v_mov_b32_e32 v5, v3
	s_or_b64 s[40:41], vcc, s[40:41]
	v_add_u32_e32 v0, v0, v20
	global_store_dwordx4 v[16:17], v[2:5], off
	s_andn2_b64 exec, exec, s[40:41]
	s_cbranch_execz .LBB2_126
.LBB2_114:                              ;   Parent Loop BB2_21 Depth=1
                                        ;     Parent Loop BB2_68 Depth=2
                                        ; =>    This Loop Header: Depth=3
                                        ;         Child Loop BB2_120 Depth 4
	global_load_dword v2, v[56:57], off glc slc
	v_cmp_ne_u32_e32 vcc, 1, v61
	s_and_saveexec_b64 s[20:21], vcc
	s_cbranch_execz .LBB2_116
; %bb.115:                              ;   in Loop: Header=BB2_114 Depth=3
	global_load_dword v55, v[56:57], off offset:4 glc slc
.LBB2_116:                              ;   in Loop: Header=BB2_114 Depth=3
	s_or_b64 exec, exec, s[20:21]
	v_ashrrev_i32_e32 v1, 31, v0
	v_lshlrev_b64 v[4:5], 4, v[0:1]
	v_add_co_u32_e32 v8, vcc, v7, v4
	v_addc_co_u32_e32 v9, vcc, v21, v5, vcc
	global_load_dwordx4 v[16:19], v[8:9], off glc slc
	v_cmp_eq_u32_e32 vcc, 0, v62
	s_and_saveexec_b64 s[42:43], vcc
	s_cbranch_execz .LBB2_113
; %bb.117:                              ;   in Loop: Header=BB2_114 Depth=3
	s_waitcnt vmcnt(0)
	v_cmp_ne_u32_e32 vcc, v46, v17
	v_cmp_ne_u32_e64 s[20:21], v46, v19
	s_or_b64 s[20:21], vcc, s[20:21]
	v_mov_b32_e32 v62, 0
	s_and_saveexec_b64 s[44:45], s[20:21]
	s_cbranch_execz .LBB2_112
; %bb.118:                              ;   in Loop: Header=BB2_114 Depth=3
	s_mov_b32 s50, 1
	s_mov_b64 s[46:47], 0
	v_mov_b32_e32 v62, 0
	s_branch .LBB2_120
.LBB2_119:                              ;   in Loop: Header=BB2_120 Depth=4
	s_or_b64 exec, exec, s[48:49]
	s_and_b64 s[20:21], exec, s[20:21]
	s_or_b64 s[46:47], s[20:21], s[46:47]
	s_andn2_b64 exec, exec, s[46:47]
	s_cbranch_execz .LBB2_111
.LBB2_120:                              ;   Parent Loop BB2_21 Depth=1
                                        ;     Parent Loop BB2_68 Depth=2
                                        ;       Parent Loop BB2_114 Depth=3
                                        ; =>      This Inner Loop Header: Depth=4
	global_load_dwordx4 v[16:19], v[8:9], off glc slc
	s_add_i32 s50, s50, 1
	s_cmpk_lg_i32 s50, 0x2710
	s_cbranch_scc1 .LBB2_124
; %bb.121:                              ;   in Loop: Header=BB2_120 Depth=4
	s_trap 2
	ds_read_b64 v[26:27], v0
	s_waitcnt vmcnt(0) lgkmcnt(0)
	flat_load_dword v1, v[26:27] glc
	s_waitcnt vmcnt(0) lgkmcnt(0)
	buffer_invl2
	buffer_wbinvl1_vol
	v_cmp_ne_u32_e32 vcc, 0, v1
	s_and_saveexec_b64 s[20:21], vcc
	s_cbranch_execz .LBB2_123
; %bb.122:                              ;   in Loop: Header=BB2_120 Depth=4
	v_mov_b32_e32 v62, 1
	ds_write_b32 v0, v1
	s_trap 2
.LBB2_123:                              ;   in Loop: Header=BB2_120 Depth=4
	s_or_b64 exec, exec, s[20:21]
	s_mov_b32 s50, 0
	v_mov_b32_e32 v1, v62
	v_cmp_eq_u32_e32 vcc, 0, v1
	s_mov_b64 s[20:21], -1
	s_and_saveexec_b64 s[48:49], vcc
	s_cbranch_execz .LBB2_119
	s_branch .LBB2_125
.LBB2_124:                              ;   in Loop: Header=BB2_120 Depth=4
	v_mov_b32_e32 v1, 0
	v_cmp_eq_u32_e32 vcc, 0, v1
	s_mov_b64 s[20:21], -1
	s_and_saveexec_b64 s[48:49], vcc
	s_cbranch_execz .LBB2_119
.LBB2_125:                              ;   in Loop: Header=BB2_120 Depth=4
	s_waitcnt vmcnt(0)
	v_cmp_eq_u32_e32 vcc, v46, v17
	v_cmp_eq_u32_e64 s[20:21], v46, v19
	s_and_b64 s[20:21], vcc, s[20:21]
	s_orn2_b64 s[20:21], s[20:21], exec
	s_branch .LBB2_119
.LBB2_126:                              ;   in Loop: Header=BB2_68 Depth=2
	s_or_b64 exec, exec, s[40:41]
	s_or_b64 exec, exec, s[38:39]
	s_and_saveexec_b64 s[20:21], s[10:11]
	s_cbranch_execz .LBB2_72
.LBB2_127:                              ;   in Loop: Header=BB2_68 Depth=2
	s_and_saveexec_b64 vcc, s[30:31]
	s_xor_b64 s[38:39], exec, vcc
	s_cbranch_execz .LBB2_142
; %bb.128:                              ;   in Loop: Header=BB2_68 Depth=2
	s_and_saveexec_b64 s[40:41], s[12:13]
	s_cbranch_execz .LBB2_141
; %bb.129:                              ;   in Loop: Header=BB2_68 Depth=2
	s_mov_b64 s[44:45], exec
	v_mbcnt_lo_u32_b32 v1, s44, 0
	v_mbcnt_hi_u32_b32 v1, s45, v1
	v_cmp_eq_u32_e32 vcc, 0, v1
	s_waitcnt vmcnt(0) lgkmcnt(0)
	buffer_wbinvl1_vol
	s_and_saveexec_b64 s[42:43], vcc
	s_cbranch_execz .LBB2_131
; %bb.130:                              ;   in Loop: Header=BB2_68 Depth=2
	s_bcnt1_i32_b64 vcc_lo, s[44:45]
	v_mov_b32_e32 v2, vcc_lo
	v_mov_b32_e32 v3, v42
	ds_add_u64 v0, v[2:3]
	s_trap 2
.LBB2_131:                              ;   in Loop: Header=BB2_68 Depth=2
	s_or_b64 exec, exec, s[42:43]
	s_trap 2
	ds_read_b64 v[2:3], v0
	v_accvgpr_read_b32 v4, a20
	v_add_co_u32_e32 v40, vcc, v40, v4
	v_accvgpr_read_b32 v1, a1
	v_addc_co_u32_e32 v41, vcc, v41, v1, vcc
	s_waitcnt lgkmcnt(0)
	v_cmp_lt_u64_e32 vcc, v[2:3], v[40:41]
	s_and_saveexec_b64 s[42:43], vcc
	s_cbranch_execz .LBB2_140
; %bb.132:                              ;   in Loop: Header=BB2_68 Depth=2
	s_mov_b32 s57, 0
	s_mov_b64 s[44:45], 0
                                        ; implicit-def: $sgpr46_sgpr47
                                        ; implicit-def: $sgpr48_sgpr49
	s_branch .LBB2_134
.LBB2_133:                              ;   in Loop: Header=BB2_134 Depth=3
	s_or_b64 exec, exec, s[52:53]
	s_and_b64 vcc, exec, vcc
	s_or_b64 s[44:45], vcc, s[44:45]
	s_andn2_b64 vcc, s[46:47], exec
	s_and_b64 s[46:47], s[48:49], exec
	s_or_b64 s[46:47], vcc, s[46:47]
	s_andn2_b64 exec, exec, s[44:45]
	s_cbranch_execz .LBB2_138
.LBB2_134:                              ;   Parent Loop BB2_21 Depth=1
                                        ;     Parent Loop BB2_68 Depth=2
                                        ; =>    This Inner Loop Header: Depth=3
	s_add_i32 s57, s57, 1
	s_cmpk_lg_i32 s57, 0x2710
	s_cselect_b64 s[50:51], -1, 0
	s_and_b64 vcc, exec, s[50:51]
                                        ; implicit-def: $sgpr52_sgpr53
	s_cbranch_vccnz .LBB2_136
; %bb.135:                              ;   in Loop: Header=BB2_134 Depth=3
	s_trap 2
	ds_read_b64 v[2:3], v0
	s_andn2_b64 s[50:51], s[50:51], exec
	s_mov_b32 s57, 0
	s_mov_b64 s[52:53], -1
	s_waitcnt lgkmcnt(0)
	flat_load_dword v1, v[2:3] glc
	s_waitcnt vmcnt(0) lgkmcnt(0)
	buffer_invl2
	buffer_wbinvl1_vol
	v_cmp_eq_u32_e32 vcc, 0, v1
	s_and_b64 vcc, vcc, exec
	s_or_b64 s[50:51], s[50:51], vcc
.LBB2_136:                              ;   in Loop: Header=BB2_134 Depth=3
	s_andn2_b64 s[48:49], s[48:49], exec
	s_and_b64 s[52:53], s[52:53], exec
	s_mov_b64 vcc, -1
	s_or_b64 s[48:49], s[48:49], s[52:53]
	s_and_saveexec_b64 s[52:53], s[50:51]
	s_cbranch_execz .LBB2_133
; %bb.137:                              ;   in Loop: Header=BB2_134 Depth=3
	s_sleep 1
	s_trap 2
	ds_read_b64 v[2:3], v0
	s_andn2_b64 s[48:49], s[48:49], exec
	s_waitcnt lgkmcnt(0)
	v_cmp_ge_u64_e32 vcc, v[2:3], v[40:41]
	s_orn2_b64 vcc, vcc, exec
	s_branch .LBB2_133
.LBB2_138:                              ;   in Loop: Header=BB2_68 Depth=2
	s_or_b64 exec, exec, s[44:45]
	s_and_saveexec_b64 vcc, s[46:47]
	s_xor_b64 vcc, exec, vcc
	s_cbranch_execz .LBB2_140
; %bb.139:                              ;   in Loop: Header=BB2_68 Depth=2
	v_mov_b32_e32 v1, 1
	ds_write_b32 v0, v1
	s_trap 2
.LBB2_140:                              ;   in Loop: Header=BB2_68 Depth=2
	s_or_b64 exec, exec, s[42:43]
	;;#ASMSTART
	s_wakeup
	;;#ASMEND
.LBB2_141:                              ;   in Loop: Header=BB2_68 Depth=2
	s_or_b64 exec, exec, s[40:41]
.LBB2_142:                              ;   in Loop: Header=BB2_68 Depth=2
	s_andn2_saveexec_b64 vcc, s[38:39]
	s_cbranch_execz .LBB2_144
; %bb.143:                              ;   in Loop: Header=BB2_68 Depth=2
	s_waitcnt vmcnt(0) lgkmcnt(0)
	buffer_wbinvl1_vol
	s_barrier
.LBB2_144:                              ;   in Loop: Header=BB2_68 Depth=2
	s_or_b64 exec, exec, vcc
	s_or_b64 exec, exec, s[20:21]
	s_and_saveexec_b64 s[20:21], s[14:15]
	s_cbranch_execnz .LBB2_73
	s_branch .LBB2_74
.LBB2_145:                              ;   in Loop: Header=BB2_21 Depth=1
	v_pk_mov_b32 v[16:17], v[10:11], v[10:11] op_sel:[0,1]
	s_and_saveexec_b64 s[38:39], s[18:19]
	s_cbranch_execnz .LBB2_147
	s_branch .LBB2_170
.LBB2_146:                              ;   in Loop: Header=BB2_21 Depth=1
	v_accvgpr_read_b32 v6, a36
	v_pk_mov_b32 v[16:17], v[10:11], v[10:11] op_sel:[0,1]
	v_accvgpr_read_b32 v7, a37
	s_and_saveexec_b64 s[38:39], s[18:19]
	s_cbranch_execz .LBB2_170
.LBB2_147:                              ;   in Loop: Header=BB2_21 Depth=1
	flat_load_dword v4, v[22:23]
	v_accvgpr_read_b32 v2, a8
	v_accvgpr_read_b32 v3, a9
	v_add_co_u32_e32 v5, vcc, v2, v6
	v_and_b32_e32 v2, 7, v34
	v_addc_co_u32_e32 v10, vcc, v3, v7, vcc
	v_accvgpr_read_b32 v0, a26
	v_mul_lo_u32 v2, v2, s54
	v_add_co_u32_e32 v0, vcc, v0, v6
	v_accvgpr_read_b32 v1, a27
	v_ashrrev_i32_e32 v3, 31, v2
	v_addc_co_u32_e32 v1, vcc, v1, v7, vcc
	v_lshlrev_b64 v[2:3], 4, v[2:3]
	v_accvgpr_read_b32 v8, a14
	v_accvgpr_read_b32 v9, a15
	v_add_co_u32_e32 v7, vcc, v8, v2
	v_addc_co_u32_e32 v21, vcc, v9, v3, vcc
	v_add_u32_e32 v6, 1, v34
	s_mov_b64 s[40:41], 0
                                        ; implicit-def: $vgpr46_vgpr47
	s_waitcnt vmcnt(0) lgkmcnt(0)
	v_ashrrev_i32_e32 v11, 31, v4
	v_mul_lo_u32 v18, v45, v4
	v_mad_u64_u32 v[2:3], s[18:19], v44, v4, 0
	v_mul_lo_u32 v4, v44, v11
	v_add3_u32 v3, v3, v4, v18
	v_lshlrev_b64 v[2:3], 2, v[2:3]
	v_add_co_u32_e32 v2, vcc, v5, v2
	v_addc_co_u32_e32 v3, vcc, v10, v3, vcc
	v_accvgpr_read_b32 v4, a24
	v_accvgpr_read_b32 v5, a25
	v_add_co_u32_e32 v10, vcc, v2, v4
	v_addc_co_u32_e32 v11, vcc, v3, v5, vcc
	v_mov_b32_e32 v18, v24
	s_branch .LBB2_149
.LBB2_148:                              ;   in Loop: Header=BB2_149 Depth=2
	v_add_co_u32_e32 v10, vcc, v10, v58
	v_addc_co_u32_e32 v11, vcc, v11, v59, vcc
	v_add_co_u32_e32 v0, vcc, v0, v58
	v_addc_co_u32_e32 v1, vcc, v1, v59, vcc
	v_sub_u32_e32 v32, v32, v60
	v_cmp_gt_i32_e32 vcc, 1, v32
	v_or_b32_e32 v47, 0, v47
	v_or_b32_e32 v46, v46, v56
	s_or_b64 s[40:41], vcc, s[40:41]
	v_add_u32_e32 v18, v18, v20
	s_andn2_b64 exec, exec, s[40:41]
	s_cbranch_execz .LBB2_169
.LBB2_149:                              ;   Parent Loop BB2_21 Depth=1
                                        ; =>  This Loop Header: Depth=2
                                        ;       Child Loop BB2_155 Depth 3
	global_load_dword v56, v[10:11], off glc slc
	v_cmp_ne_u32_e32 vcc, 1, v32
	s_and_saveexec_b64 s[18:19], vcc
	s_cbranch_execz .LBB2_151
; %bb.150:                              ;   in Loop: Header=BB2_149 Depth=2
	global_load_dword v43, v[10:11], off offset:4 glc slc
	s_waitcnt vmcnt(0)
	v_pk_mov_b32 v[46:47], v[42:43], v[42:43] op_sel:[0,1]
.LBB2_151:                              ;   in Loop: Header=BB2_149 Depth=2
	s_or_b64 exec, exec, s[18:19]
	v_ashrrev_i32_e32 v19, 31, v18
	v_lshlrev_b64 v[2:3], 4, v[18:19]
	v_add_co_u32_e64 v54, s[18:19], v7, v2
	v_addc_co_u32_e64 v55, s[18:19], v21, v3, s[18:19]
	global_load_dwordx4 v[2:5], v[54:55], off glc slc
	v_cmp_eq_u32_e64 s[18:19], 0, v62
	s_and_saveexec_b64 s[42:43], s[18:19]
	s_cbranch_execz .LBB2_163
; %bb.152:                              ;   in Loop: Header=BB2_149 Depth=2
	s_waitcnt vmcnt(0)
	v_cmp_ne_u32_e64 s[18:19], v6, v3
	v_cmp_ne_u32_e64 s[20:21], v6, v5
	s_or_b64 s[18:19], s[18:19], s[20:21]
	v_mov_b32_e32 v62, 0
	s_and_saveexec_b64 s[44:45], s[18:19]
	s_cbranch_execz .LBB2_162
; %bb.153:                              ;   in Loop: Header=BB2_149 Depth=2
	s_mov_b32 s50, 1
	s_mov_b64 s[46:47], 0
	v_mov_b32_e32 v62, 0
	s_branch .LBB2_155
.LBB2_154:                              ;   in Loop: Header=BB2_155 Depth=3
	s_or_b64 exec, exec, s[48:49]
	s_and_b64 s[18:19], exec, s[20:21]
	s_or_b64 s[46:47], s[18:19], s[46:47]
	s_andn2_b64 exec, exec, s[46:47]
	s_cbranch_execz .LBB2_161
.LBB2_155:                              ;   Parent Loop BB2_21 Depth=1
                                        ;     Parent Loop BB2_149 Depth=2
                                        ; =>    This Inner Loop Header: Depth=3
	global_load_dwordx4 v[2:5], v[54:55], off glc slc
	s_add_i32 s50, s50, 1
	s_cmpk_lg_i32 s50, 0x2710
	s_cbranch_scc1 .LBB2_159
; %bb.156:                              ;   in Loop: Header=BB2_155 Depth=3
	s_trap 2
	ds_read_b64 v[8:9], v0
	s_waitcnt vmcnt(0) lgkmcnt(0)
	flat_load_dword v19, v[8:9] glc
	s_waitcnt vmcnt(0) lgkmcnt(0)
	buffer_invl2
	buffer_wbinvl1_vol
	v_cmp_ne_u32_e64 s[18:19], 0, v19
	s_and_saveexec_b64 s[20:21], s[18:19]
	s_cbranch_execz .LBB2_158
; %bb.157:                              ;   in Loop: Header=BB2_155 Depth=3
	v_mov_b32_e32 v62, 1
	ds_write_b32 v0, v19
	s_trap 2
.LBB2_158:                              ;   in Loop: Header=BB2_155 Depth=3
	s_or_b64 exec, exec, s[20:21]
	s_mov_b32 s50, 0
	v_mov_b32_e32 v19, v62
	v_cmp_eq_u32_e64 s[18:19], 0, v19
	s_mov_b64 s[20:21], -1
	s_and_saveexec_b64 s[48:49], s[18:19]
	s_cbranch_execz .LBB2_154
	s_branch .LBB2_160
.LBB2_159:                              ;   in Loop: Header=BB2_155 Depth=3
	v_mov_b32_e32 v19, 0
	v_cmp_eq_u32_e64 s[18:19], 0, v19
	s_mov_b64 s[20:21], -1
	s_and_saveexec_b64 s[48:49], s[18:19]
	s_cbranch_execz .LBB2_154
.LBB2_160:                              ;   in Loop: Header=BB2_155 Depth=3
	s_waitcnt vmcnt(0)
	v_cmp_eq_u32_e64 s[18:19], v6, v3
	v_cmp_eq_u32_e64 s[20:21], v6, v5
	s_and_b64 s[18:19], s[18:19], s[20:21]
	s_orn2_b64 s[20:21], s[18:19], exec
	s_branch .LBB2_154
.LBB2_161:                              ;   in Loop: Header=BB2_149 Depth=2
	s_or_b64 exec, exec, s[46:47]
.LBB2_162:                              ;   in Loop: Header=BB2_149 Depth=2
	s_or_b64 exec, exec, s[44:45]
.LBB2_163:                              ;   in Loop: Header=BB2_149 Depth=2
	s_or_b64 exec, exec, s[42:43]
	s_waitcnt vmcnt(0)
	v_add_co_u32_e64 v2, s[18:19], v2, v56
	v_mov_b32_e32 v3, v4
	v_add_co_u32_e64 v4, s[18:19], 0, v46
	v_addc_co_u32_e64 v3, s[18:19], v3, v47, s[18:19]
	v_cmp_ne_u32_e64 s[18:19], 1, v32
	s_and_b64 s[18:19], s[16:17], s[18:19]
	v_cndmask_b32_e64 v4, 0, 1, s[18:19]
	;;#ASMSTART
	;;#ASMEND
	v_cmp_ne_u32_e64 s[18:19], 0, v4
	s_cmp_lg_u64 s[18:19], exec
	s_mov_b64 s[18:19], -1
	s_cbranch_scc0 .LBB2_167
; %bb.164:                              ;   in Loop: Header=BB2_149 Depth=2
	flat_store_dword v[0:1], v2
	s_and_saveexec_b64 s[18:19], vcc
	s_cbranch_execz .LBB2_166
; %bb.165:                              ;   in Loop: Header=BB2_149 Depth=2
	flat_store_dword v[0:1], v3 offset:4
.LBB2_166:                              ;   in Loop: Header=BB2_149 Depth=2
	s_or_b64 exec, exec, s[18:19]
	s_mov_b64 s[18:19], 0
.LBB2_167:                              ;   in Loop: Header=BB2_149 Depth=2
	s_andn2_b64 vcc, exec, s[18:19]
	s_cbranch_vccnz .LBB2_148
; %bb.168:                              ;   in Loop: Header=BB2_149 Depth=2
	global_store_dwordx2 v[0:1], v[2:3], off
	s_branch .LBB2_148
.LBB2_169:                              ;   in Loop: Header=BB2_21 Depth=1
	s_or_b64 exec, exec, s[40:41]
.LBB2_170:                              ;   in Loop: Header=BB2_21 Depth=1
	s_or_b64 exec, exec, s[38:39]
	v_accvgpr_read_b32 v5, a3
	v_accvgpr_read_b32 v9, a7
	v_accvgpr_read_b32 v10, a34
	v_accvgpr_read_b32 v4, a2
	v_accvgpr_read_b32 v8, a6
	v_accvgpr_read_b32 v11, a35
	s_and_saveexec_b64 s[18:19], s[10:11]
	s_cbranch_execz .LBB2_189
; %bb.171:                              ;   in Loop: Header=BB2_21 Depth=1
	s_and_saveexec_b64 s[20:21], s[30:31]
	s_xor_b64 s[20:21], exec, s[20:21]
	s_cbranch_execz .LBB2_186
; %bb.172:                              ;   in Loop: Header=BB2_21 Depth=1
	s_and_saveexec_b64 s[38:39], s[12:13]
	s_cbranch_execz .LBB2_185
; %bb.173:                              ;   in Loop: Header=BB2_21 Depth=1
	s_mov_b64 s[42:43], exec
	v_mbcnt_lo_u32_b32 v0, s42, 0
	v_mbcnt_hi_u32_b32 v0, s43, v0
	v_cmp_eq_u32_e32 vcc, 0, v0
	s_waitcnt vmcnt(0) lgkmcnt(0)
	buffer_wbinvl1_vol
	s_and_saveexec_b64 s[40:41], vcc
	s_cbranch_execz .LBB2_175
; %bb.174:                              ;   in Loop: Header=BB2_21 Depth=1
	s_bcnt1_i32_b64 vcc_lo, s[42:43]
	v_mov_b32_e32 v0, vcc_lo
	v_mov_b32_e32 v1, v42
	ds_add_u64 v0, v[0:1]
	s_trap 2
.LBB2_175:                              ;   in Loop: Header=BB2_21 Depth=1
	s_or_b64 exec, exec, s[40:41]
	s_trap 2
	ds_read_b64 v[0:1], v0
	v_accvgpr_read_b32 v2, a20
	v_add_co_u32_e32 v40, vcc, v40, v2
	v_accvgpr_read_b32 v3, a1
	v_addc_co_u32_e32 v41, vcc, v41, v3, vcc
	s_waitcnt lgkmcnt(0)
	v_cmp_lt_u64_e32 vcc, v[0:1], v[40:41]
	s_and_saveexec_b64 s[40:41], vcc
	s_cbranch_execz .LBB2_184
; %bb.176:                              ;   in Loop: Header=BB2_21 Depth=1
	s_mov_b32 s52, 0
	s_mov_b64 s[42:43], 0
                                        ; implicit-def: $sgpr44_sgpr45
                                        ; implicit-def: $sgpr46_sgpr47
	s_branch .LBB2_178
.LBB2_177:                              ;   in Loop: Header=BB2_178 Depth=2
	s_or_b64 exec, exec, s[50:51]
	s_and_b64 vcc, exec, vcc
	s_or_b64 s[42:43], vcc, s[42:43]
	s_andn2_b64 vcc, s[44:45], exec
	s_and_b64 s[44:45], s[46:47], exec
	s_or_b64 s[44:45], vcc, s[44:45]
	s_andn2_b64 exec, exec, s[42:43]
	s_cbranch_execz .LBB2_182
.LBB2_178:                              ;   Parent Loop BB2_21 Depth=1
                                        ; =>  This Inner Loop Header: Depth=2
	s_add_i32 s52, s52, 1
	s_cmpk_lg_i32 s52, 0x2710
	s_cselect_b64 s[48:49], -1, 0
	s_and_b64 vcc, exec, s[48:49]
                                        ; implicit-def: $sgpr50_sgpr51
	s_cbranch_vccnz .LBB2_180
; %bb.179:                              ;   in Loop: Header=BB2_178 Depth=2
	s_trap 2
	ds_read_b64 v[0:1], v0
	s_andn2_b64 s[48:49], s[48:49], exec
	s_mov_b32 s52, 0
	s_mov_b64 s[50:51], -1
	s_waitcnt lgkmcnt(0)
	flat_load_dword v0, v[0:1] glc
	s_waitcnt vmcnt(0) lgkmcnt(0)
	buffer_invl2
	buffer_wbinvl1_vol
	v_cmp_eq_u32_e32 vcc, 0, v0
	s_and_b64 vcc, vcc, exec
	s_or_b64 s[48:49], s[48:49], vcc
.LBB2_180:                              ;   in Loop: Header=BB2_178 Depth=2
	s_andn2_b64 s[46:47], s[46:47], exec
	s_and_b64 s[50:51], s[50:51], exec
	s_mov_b64 vcc, -1
	s_or_b64 s[46:47], s[46:47], s[50:51]
	s_and_saveexec_b64 s[50:51], s[48:49]
	s_cbranch_execz .LBB2_177
; %bb.181:                              ;   in Loop: Header=BB2_178 Depth=2
	s_sleep 1
	s_trap 2
	ds_read_b64 v[0:1], v0
	s_andn2_b64 s[46:47], s[46:47], exec
	s_waitcnt lgkmcnt(0)
	v_cmp_ge_u64_e32 vcc, v[0:1], v[40:41]
	s_orn2_b64 vcc, vcc, exec
	s_branch .LBB2_177
.LBB2_182:                              ;   in Loop: Header=BB2_21 Depth=1
	s_or_b64 exec, exec, s[42:43]
	s_and_saveexec_b64 vcc, s[44:45]
	s_xor_b64 vcc, exec, vcc
	s_cbranch_execz .LBB2_184
; %bb.183:                              ;   in Loop: Header=BB2_21 Depth=1
	v_mov_b32_e32 v0, 1
	ds_write_b32 v0, v0
	s_trap 2
.LBB2_184:                              ;   in Loop: Header=BB2_21 Depth=1
	s_or_b64 exec, exec, s[40:41]
	;;#ASMSTART
	s_wakeup
	;;#ASMEND
.LBB2_185:                              ;   in Loop: Header=BB2_21 Depth=1
	s_or_b64 exec, exec, s[38:39]
.LBB2_186:                              ;   in Loop: Header=BB2_21 Depth=1
	s_andn2_saveexec_b64 s[20:21], s[20:21]
	s_cbranch_execz .LBB2_188
; %bb.187:                              ;   in Loop: Header=BB2_21 Depth=1
	s_waitcnt vmcnt(0) lgkmcnt(0)
	buffer_wbinvl1_vol
	s_barrier
.LBB2_188:                              ;   in Loop: Header=BB2_21 Depth=1
	s_or_b64 exec, exec, s[20:21]
.LBB2_189:                              ;   in Loop: Header=BB2_21 Depth=1
	s_or_b64 exec, exec, s[18:19]
	s_and_saveexec_b64 s[18:19], s[14:15]
	s_cbranch_execz .LBB2_20
; %bb.190:                              ;   in Loop: Header=BB2_21 Depth=1
	v_add_co_u32_e32 v38, vcc, 1, v38
	v_accvgpr_read_b32 v0, a16
	v_addc_co_u32_e32 v39, vcc, 0, v39, vcc
	v_accvgpr_read_b32 v1, a17
	flat_store_dwordx2 v[0:1], v[38:39]
	s_branch .LBB2_20
.LBB2_191:
	s_or_b64 exec, exec, s[28:29]
	v_accvgpr_read_b32 v19, a11
	v_accvgpr_read_b32 v27, a13
	v_accvgpr_read_b32 v11, a0
	v_accvgpr_read_b32 v18, a10
	v_accvgpr_read_b32 v26, a12
.LBB2_192:
	s_or_b64 exec, exec, s[26:27]
; %bb.193:
	s_and_saveexec_b64 s[6:7], s[24:25]
	s_cbranch_execnz .LBB2_196
; %bb.194:
	s_or_b64 exec, exec, s[6:7]
	s_and_saveexec_b64 s[6:7], s[4:5]
	s_cbranch_execnz .LBB2_197
.LBB2_195:
	s_or_b64 exec, exec, s[6:7]
	v_cmp_ne_u32_e32 vcc, 64, v20
	s_and_saveexec_b64 s[4:5], vcc
	s_cbranch_execnz .LBB2_198
	s_branch .LBB2_215
.LBB2_196:
	s_waitcnt vmcnt(0) lgkmcnt(0)
	flat_store_dwordx2 v[26:27], v[38:39] offset:104
	s_or_b64 exec, exec, s[6:7]
	s_and_saveexec_b64 s[6:7], s[4:5]
	s_cbranch_execz .LBB2_195
.LBB2_197:
	s_waitcnt vmcnt(0) lgkmcnt(0)
	flat_store_dwordx2 v[18:19], v[14:15] offset:104
	s_or_b64 exec, exec, s[6:7]
	v_cmp_ne_u32_e32 vcc, 64, v20
	s_and_saveexec_b64 s[4:5], vcc
	s_cbranch_execz .LBB2_215
.LBB2_198:
	v_cmp_ne_u32_sdwa s[6:7], v11, v20 src0_sel:WORD_0 src1_sel:DWORD
	s_and_saveexec_b64 s[8:9], s[6:7]
	s_xor_b64 s[6:7], exec, s[8:9]
	s_cbranch_execz .LBB2_213
; %bb.199:
	v_and_b32_e32 v0, 63, v31
	v_cmp_eq_u32_e32 vcc, 0, v0
	s_and_saveexec_b64 s[8:9], vcc
	s_cbranch_execz .LBB2_212
; %bb.200:
	s_mov_b64 s[12:13], exec
	v_mbcnt_lo_u32_b32 v0, s12, 0
	v_mbcnt_hi_u32_b32 v0, s13, v0
	v_cmp_eq_u32_e32 vcc, 0, v0
	s_waitcnt vmcnt(0) lgkmcnt(0)
	buffer_wbinvl1_vol
	s_and_saveexec_b64 s[10:11], vcc
	s_cbranch_execz .LBB2_202
; %bb.201:
	s_bcnt1_i32_b64 s12, s[12:13]
	v_mov_b32_e32 v0, s12
	v_mov_b32_e32 v1, 0
	ds_add_u64 v0, v[0:1]
	s_trap 2
.LBB2_202:
	s_or_b64 exec, exec, s[10:11]
	v_ashrrev_i32_e32 v0, 31, v20
	v_lshrrev_b32_e32 v0, 26, v0
	v_add_u32_e32 v0, v20, v0
	v_ashrrev_i32_e32 v0, 6, v0
	s_trap 2
	ds_read_b64 v[2:3], v0
	v_ashrrev_i32_e32 v1, 31, v0
	v_add_co_u32_e32 v0, vcc, v40, v0
	v_addc_co_u32_e32 v1, vcc, v41, v1, vcc
	s_waitcnt lgkmcnt(0)
	v_cmp_lt_u64_e32 vcc, v[2:3], v[0:1]
	s_and_saveexec_b64 s[10:11], vcc
	s_cbranch_execz .LBB2_211
; %bb.203:
	s_mov_b32 s24, 0
	s_mov_b64 s[12:13], 0
                                        ; implicit-def: $sgpr14_sgpr15
                                        ; implicit-def: $sgpr16_sgpr17
	s_branch .LBB2_205
.LBB2_204:                              ;   in Loop: Header=BB2_205 Depth=1
	s_or_b64 exec, exec, s[22:23]
	s_and_b64 s[18:19], exec, s[20:21]
	s_or_b64 s[12:13], s[18:19], s[12:13]
	s_andn2_b64 s[14:15], s[14:15], exec
	s_and_b64 s[18:19], s[16:17], exec
	s_or_b64 s[14:15], s[14:15], s[18:19]
	s_andn2_b64 exec, exec, s[12:13]
	s_cbranch_execz .LBB2_209
.LBB2_205:                              ; =>This Inner Loop Header: Depth=1
	s_add_i32 s24, s24, 1
	s_cmpk_lg_i32 s24, 0x2710
	s_cselect_b64 s[18:19], -1, 0
	s_and_b64 vcc, exec, s[18:19]
                                        ; implicit-def: $sgpr22_sgpr23
	s_cbranch_vccnz .LBB2_207
; %bb.206:                              ;   in Loop: Header=BB2_205 Depth=1
	s_trap 2
	ds_read_b64 v[2:3], v0
	s_andn2_b64 s[18:19], s[18:19], exec
	s_mov_b32 s24, 0
	s_mov_b64 s[22:23], -1
	s_waitcnt lgkmcnt(0)
	flat_load_dword v2, v[2:3] glc
	s_waitcnt vmcnt(0) lgkmcnt(0)
	buffer_invl2
	buffer_wbinvl1_vol
	v_cmp_eq_u32_e32 vcc, 0, v2
	s_and_b64 s[20:21], vcc, exec
	s_or_b64 s[18:19], s[18:19], s[20:21]
.LBB2_207:                              ;   in Loop: Header=BB2_205 Depth=1
	s_andn2_b64 s[16:17], s[16:17], exec
	s_and_b64 s[22:23], s[22:23], exec
	s_mov_b64 s[20:21], -1
	s_or_b64 s[16:17], s[16:17], s[22:23]
	s_and_saveexec_b64 s[22:23], s[18:19]
	s_cbranch_execz .LBB2_204
; %bb.208:                              ;   in Loop: Header=BB2_205 Depth=1
	s_sleep 1
	s_trap 2
	ds_read_b64 v[2:3], v0
	s_andn2_b64 s[16:17], s[16:17], exec
	s_waitcnt lgkmcnt(0)
	v_cmp_ge_u64_e32 vcc, v[2:3], v[0:1]
	s_orn2_b64 s[20:21], vcc, exec
	s_branch .LBB2_204
.LBB2_209:
	s_or_b64 exec, exec, s[12:13]
	s_and_saveexec_b64 s[12:13], s[14:15]
	s_xor_b64 s[12:13], exec, s[12:13]
	s_cbranch_execz .LBB2_211
; %bb.210:
	v_mov_b32_e32 v0, 1
	ds_write_b32 v0, v0
	s_trap 2
.LBB2_211:
	s_or_b64 exec, exec, s[10:11]
	;;#ASMSTART
	s_wakeup
	;;#ASMEND
.LBB2_212:
	s_or_b64 exec, exec, s[8:9]
.LBB2_213:
	s_andn2_saveexec_b64 s[6:7], s[6:7]
	s_cbranch_execz .LBB2_215
; %bb.214:
	s_waitcnt vmcnt(0) lgkmcnt(0)
	buffer_wbinvl1_vol
	s_barrier
.LBB2_215:
	s_or_b64 exec, exec, s[4:5]
	buffer_load_dword a37, off, s[0:3], s32 ; 4-byte Folded Reload
	buffer_load_dword a36, off, s[0:3], s32 offset:4 ; 4-byte Folded Reload
	buffer_load_dword a35, off, s[0:3], s32 offset:8 ; 4-byte Folded Reload
	;; [unrolled: 1-line block ×20, first 2 shown]
	v_readlane_b32 s30, v63, 24
	v_readlane_b32 s31, v63, 25
	;; [unrolled: 1-line block ×26, first 2 shown]
	s_or_saveexec_b64 s[4:5], -1
	buffer_load_dword v63, off, s[0:3], s32 offset:84 ; 4-byte Folded Reload
	s_mov_b64 exec, s[4:5]
	s_waitcnt vmcnt(0) lgkmcnt(0)
	s_setpc_b64 s[30:31]
.Lfunc_end2:
	.size	_ZN12_GLOBAL__N_17runRingIj7FuncSumIjE7ProtoLLLi0ELi2ELi0EEEviiP15ncclDevWorkColl, .Lfunc_end2-_ZN12_GLOBAL__N_17runRingIj7FuncSumIjE7ProtoLLLi0ELi2ELi0EEEviiP15ncclDevWorkColl
                                        ; -- End function
	.section	.AMDGPU.csdata,"",@progbits
; Function info:
; codeLenInByte = 7996
; NumSgprs: 62
; NumVgprs: 64
; NumAgprs: 38
; TotalNumVgprs: 102
; ScratchSize: 92
; MemoryBound: 0
	.text
	.p2align	2                               ; -- Begin function _Z47ncclDevFunc_ReduceScatter_RING_LL_Sum_u32_0_0_2v
	.type	_Z47ncclDevFunc_ReduceScatter_RING_LL_Sum_u32_0_0_2v,@function
_Z47ncclDevFunc_ReduceScatter_RING_LL_Sum_u32_0_0_2v: ; @_Z47ncclDevFunc_ReduceScatter_RING_LL_Sum_u32_0_0_2v
; %bb.0:
	s_waitcnt vmcnt(0) expcnt(0) lgkmcnt(0)
	s_mov_b32 s4, s33
	s_mov_b32 s33, s32
	s_or_saveexec_b64 s[6:7], -1
	buffer_store_dword v42, off, s[0:3], s33 offset:12 ; 4-byte Folded Spill
	s_mov_b64 exec, s[6:7]
	v_writelane_b32 v42, s4, 34
	s_addk_i32 s32, 0x800
	buffer_store_dword v40, off, s[0:3], s33 offset:8 ; 4-byte Folded Spill
	buffer_store_dword v41, off, s[0:3], s33 offset:4 ; 4-byte Folded Spill
	buffer_store_dword v63, off, s[0:3], s33 ; 4-byte Folded Spill
	v_writelane_b32 v42, s34, 0
	v_writelane_b32 v42, s35, 1
	v_writelane_b32 v42, s36, 2
	v_writelane_b32 v42, s37, 3
	v_writelane_b32 v42, s38, 4
	v_writelane_b32 v42, s39, 5
	v_writelane_b32 v42, s40, 6
	v_writelane_b32 v42, s41, 7
	v_writelane_b32 v42, s42, 8
	v_writelane_b32 v42, s43, 9
	v_writelane_b32 v42, s44, 10
	v_writelane_b32 v42, s45, 11
	v_writelane_b32 v42, s46, 12
	v_writelane_b32 v42, s47, 13
	v_writelane_b32 v42, s48, 14
	v_writelane_b32 v42, s49, 15
	v_writelane_b32 v42, s50, 16
	v_writelane_b32 v42, s51, 17
	v_writelane_b32 v42, s52, 18
	v_writelane_b32 v42, s53, 19
	v_writelane_b32 v42, s54, 20
	v_writelane_b32 v42, s55, 21
	v_writelane_b32 v42, s56, 22
	v_writelane_b32 v42, s57, 23
	v_writelane_b32 v42, s58, 24
	v_writelane_b32 v42, s59, 25
	v_writelane_b32 v42, s60, 26
	v_writelane_b32 v42, s61, 27
	v_writelane_b32 v42, s62, 28
	v_writelane_b32 v42, s63, 29
	v_writelane_b32 v42, s64, 30
	v_writelane_b32 v42, s65, 31
	v_writelane_b32 v42, s30, 32
	v_writelane_b32 v42, s31, 33
	s_trap 2
	ds_read_b32 v0, v0
	s_mov_b32 s60, s12
	s_mov_b64 s[58:59], s[8:9]
	s_waitcnt lgkmcnt(0)
	v_cmp_gt_i32_e32 vcc, 1, v0
	s_cbranch_vccnz .LBB3_8
; %bb.1:
	s_mov_b32 s61, 0
	v_and_b32_e32 v40, 0x3ff, v31
	s_mov_b64 s[62:63], src_shared_base
	v_mov_b32_e32 v41, 6
	s_branch .LBB3_3
.LBB3_2:                                ;   in Loop: Header=BB3_3 Depth=1
	s_or_b64 exec, exec, s[64:65]
	s_trap 2
	ds_read_b32 v0, v0
	s_add_i32 s61, s61, 1
	s_waitcnt lgkmcnt(0)
	v_cmp_lt_i32_e32 vcc, s61, v0
	s_cbranch_vccz .LBB3_8
.LBB3_3:                                ; =>This Inner Loop Header: Depth=1
	s_trap 2
	ds_read_b32 v0, v0
	s_cmp_eq_u32 s61, 0
	s_cbranch_scc1 .LBB3_6
; %bb.4:                                ;   in Loop: Header=BB3_3 Depth=1
	s_trap 2
	s_waitcnt lgkmcnt(0)
	ds_read_b32 v1, v0
	s_waitcnt lgkmcnt(0)
	v_xor_b32_e32 v1, v1, v0
	v_and_b32_e32 v1, 0xff0000, v1
	v_cmp_eq_u32_e32 vcc, 0, v1
	s_cbranch_vccnz .LBB3_6
; %bb.5:                                ;   in Loop: Header=BB3_3 Depth=1
	s_barrier
	ds_read_b32 v0, v0
.LBB3_6:                                ;   in Loop: Header=BB3_3 Depth=1
	s_waitcnt lgkmcnt(0)
	v_lshlrev_b32_sdwa v1, v41, v0 dst_sel:DWORD dst_unused:UNUSED_PAD src0_sel:DWORD src1_sel:BYTE_2
	v_cmp_lt_u32_e32 vcc, v40, v1
	s_and_saveexec_b64 s[64:65], vcc
	s_cbranch_execz .LBB3_2
; %bb.7:                                ;   in Loop: Header=BB3_3 Depth=1
	s_mov_b64 s[8:9], s[58:59]
	s_mov_b32 s12, s60
	v_mov_b32_e32 v0, v40
	v_mov_b32_e32 v3, s63
	s_getpc_b64 s[4:5]
	s_add_u32 s4, s4, _ZN12_GLOBAL__N_17runRingIj7FuncSumIjE7ProtoLLLi0ELi2ELi0EEEviiP15ncclDevWorkColl@rel32@lo+4
	s_addc_u32 s5, s5, _ZN12_GLOBAL__N_17runRingIj7FuncSumIjE7ProtoLLLi0ELi2ELi0EEEviiP15ncclDevWorkColl@rel32@hi+12
	s_swappc_b64 s[30:31], s[4:5]
	s_branch .LBB3_2
.LBB3_8:
	buffer_load_dword v63, off, s[0:3], s33 ; 4-byte Folded Reload
	buffer_load_dword v41, off, s[0:3], s33 offset:4 ; 4-byte Folded Reload
	buffer_load_dword v40, off, s[0:3], s33 offset:8 ; 4-byte Folded Reload
	v_readlane_b32 s30, v42, 32
	v_readlane_b32 s31, v42, 33
	;; [unrolled: 1-line block ×35, first 2 shown]
	s_or_saveexec_b64 s[6:7], -1
	buffer_load_dword v42, off, s[0:3], s33 offset:12 ; 4-byte Folded Reload
	s_mov_b64 exec, s[6:7]
	s_addk_i32 s32, 0xf800
	s_mov_b32 s33, s4
	s_waitcnt vmcnt(0)
	s_setpc_b64 s[30:31]
.Lfunc_end3:
	.size	_Z47ncclDevFunc_ReduceScatter_RING_LL_Sum_u32_0_0_2v, .Lfunc_end3-_Z47ncclDevFunc_ReduceScatter_RING_LL_Sum_u32_0_0_2v
                                        ; -- End function
	.section	.AMDGPU.csdata,"",@progbits
; Function info:
; codeLenInByte = 900
; NumSgprs: 70
; NumVgprs: 64
; NumAgprs: 38
; TotalNumVgprs: 102
; ScratchSize: 124
; MemoryBound: 0
	.text
	.p2align	2                               ; -- Begin function _ZN12_GLOBAL__N_17runRingIj7FuncSumIjE7ProtoLLLi0ELi4ELi0EEEviiP15ncclDevWorkColl
	.type	_ZN12_GLOBAL__N_17runRingIj7FuncSumIjE7ProtoLLLi0ELi4ELi0EEEviiP15ncclDevWorkColl,@function
_ZN12_GLOBAL__N_17runRingIj7FuncSumIjE7ProtoLLLi0ELi4ELi0EEEviiP15ncclDevWorkColl: ; @_ZN12_GLOBAL__N_17runRingIj7FuncSumIjE7ProtoLLLi0ELi4ELi0EEEviiP15ncclDevWorkColl
; %bb.0:
	s_waitcnt vmcnt(0) expcnt(0) lgkmcnt(0)
	s_or_saveexec_b64 s[4:5], -1
	buffer_store_dword v63, off, s[0:3], s32 offset:84 ; 4-byte Folded Spill
	s_mov_b64 exec, s[4:5]
	buffer_store_dword v40, off, s[0:3], s32 offset:80 ; 4-byte Folded Spill
	buffer_store_dword v41, off, s[0:3], s32 offset:76 ; 4-byte Folded Spill
	;; [unrolled: 1-line block ×20, first 2 shown]
	buffer_store_dword a37, off, s[0:3], s32 ; 4-byte Folded Spill
	v_writelane_b32 v63, s34, 0
	v_writelane_b32 v63, s35, 1
	;; [unrolled: 1-line block ×26, first 2 shown]
	s_trap 2
	flat_load_dword v7, v[2:3]
	flat_load_dwordx4 v[12:15], v[2:3] offset:72
	flat_load_dwordx2 v[8:9], v[2:3] offset:88
	ds_read_b32 v5, v0
	ds_read_b64 v[22:23], v0
	v_mov_b32_e32 v24, v0
	v_mov_b32_e32 v20, v1
                                        ; implicit-def: $agpr4_agpr5
	s_waitcnt lgkmcnt(0)
	v_readfirstlane_b32 s22, v5
	s_waitcnt vmcnt(0)
	v_not_b32_sdwa v6, v7 dst_sel:DWORD dst_unused:UNUSED_PAD src0_sel:BYTE_0
	v_add_u32_sdwa v0, v7, v6 dst_sel:DWORD dst_unused:UNUSED_PAD src0_sel:BYTE_1 src1_sel:DWORD
	v_ashrrev_i32_e32 v1, 31, v0
	v_mul_lo_u32 v4, v15, v0
	v_mad_u64_u32 v[10:11], s[4:5], v14, v0, 0
	v_accvgpr_write_b32 a0, v12
	v_mul_lo_u32 v0, v14, v1
	v_accvgpr_write_b32 a1, v13
	v_accvgpr_write_b32 a2, v14
	;; [unrolled: 1-line block ×3, first 2 shown]
	v_add3_u32 v4, v11, v0, v4
	v_cmp_ne_u32_sdwa s[4:5], v7, v5 src0_sel:BYTE_0 src1_sel:DWORD
                                        ; implicit-def: $vgpr0_vgpr1
	s_and_saveexec_b64 s[6:7], s[4:5]
	s_xor_b64 s[4:5], exec, s[6:7]
	s_cbranch_execz .LBB4_6
; %bb.1:
	v_cmp_ne_u32_sdwa s[6:7], v7, v5 src0_sel:BYTE_1 src1_sel:DWORD
                                        ; implicit-def: $vgpr0_vgpr1
                                        ; implicit-def: $agpr4_agpr5
	s_and_saveexec_b64 s[10:11], s[6:7]
	s_xor_b64 s[6:7], exec, s[10:11]
	s_cbranch_execz .LBB4_3
; %bb.2:
	flat_load_dwordx2 v[0:1], v[2:3] offset:96
	v_add_u32_e32 v5, v5, v6
	v_accvgpr_read_b32 v15, a3
	v_ashrrev_i32_e32 v6, 31, v5
	v_accvgpr_read_b32 v14, a2
	v_accvgpr_read_b32 v13, a1
	;; [unrolled: 1-line block ×3, first 2 shown]
	v_mul_lo_u32 v6, v14, v6
	v_mul_lo_u32 v7, v15, v5
	v_mad_u64_u32 v[12:13], s[10:11], v14, v5, v[12:13]
	v_add3_u32 v13, v7, v13, v6
	v_accvgpr_write_b32 a4, v12
	v_accvgpr_write_b32 a5, v13
	s_waitcnt vmcnt(0) lgkmcnt(0)
	v_lshrrev_b64 v[0:1], 19, v[0:1]
.LBB4_3:
	s_andn2_saveexec_b64 s[6:7], s[6:7]
	s_cbranch_execz .LBB4_5
; %bb.4:
	flat_load_dword v0, v[2:3] offset:100
	v_accvgpr_read_b32 v13, a1
	v_accvgpr_read_b32 v12, a0
	v_add_co_u32_e32 v6, vcc, v10, v12
	v_addc_co_u32_e32 v7, vcc, v4, v13, vcc
	v_accvgpr_write_b32 a4, v6
	v_pk_mov_b32 v[14:15], v[8:9], v[8:9] op_sel:[0,1]
	v_accvgpr_write_b32 a0, v12
	v_accvgpr_write_b32 a5, v7
	v_accvgpr_write_b32 a1, v13
	v_accvgpr_write_b32 a2, v14
	v_accvgpr_write_b32 a3, v15
	s_waitcnt vmcnt(0) lgkmcnt(0)
	v_lshrrev_b32_e32 v0, 8, v0
.LBB4_5:
	s_or_b64 exec, exec, s[6:7]
.LBB4_6:
	s_andn2_saveexec_b64 s[4:5], s[4:5]
	s_cbranch_execz .LBB4_8
; %bb.7:
	flat_load_dwordx2 v[0:1], v[2:3] offset:96
	v_pk_mov_b32 v[6:7], 0, 0
	v_accvgpr_write_b32 a4, v6
	v_accvgpr_mov_b32 a3, a1
	v_accvgpr_write_b32 a5, v7
	v_accvgpr_mov_b32 a2, a0
	s_waitcnt vmcnt(0) lgkmcnt(0)
	v_lshlrev_b64 v[0:1], 2, v[0:1]
.LBB4_8:
	s_or_b64 exec, exec, s[4:5]
	flat_load_ushort v7, v[2:3] offset:8
	flat_load_dword v6, v[2:3] offset:4
	s_load_dword s4, s[8:9], 0x0
	flat_load_dwordx4 a[6:9], v[2:3] offset:16
	v_mov_b32_e32 v3, 0
	v_ashrrev_i32_e32 v25, 31, v24
	v_lshrrev_b32_e32 v1, 26, v25
	s_waitcnt lgkmcnt(0)
	s_cmp_lt_u32 s12, s4
	s_cselect_b32 s4, 12, 18
	s_add_u32 s4, s8, s4
	s_addc_u32 s5, s9, 0
	global_load_ushort v11, v3, s[4:5]
	s_trap 2
	ds_read_b32 v2, v0
	v_add_u32_e32 v1, v24, v1
	v_and_b32_e32 v1, 0xffffffc0, v1
	v_sub_u32_e32 v1, v24, v1
	s_mov_b32 s6, 0
	s_waitcnt lgkmcnt(0)
	v_cmp_gt_i32_e32 vcc, 0, v2
	v_readfirstlane_b32 s8, v2
	s_and_b64 vcc, exec, vcc
	v_pk_mov_b32 v[18:19], 0, 0
	v_cmp_eq_u32_e64 s[4:5], 0, v1
	s_waitcnt vmcnt(0)
	v_lshrrev_b64 v[6:7], 31, v[6:7]
	v_and_b32_e32 v5, 3, v6
	s_cbranch_vccnz .LBB4_10
; %bb.9:
	s_trap 2
	ds_read_b64 v[6:7], v0
	v_lshlrev_b64 v[2:3], 3, v[2:3]
	s_movk_i32 s6, 0xa8
	s_waitcnt lgkmcnt(0)
	v_add_co_u32_e32 v2, vcc, v6, v2
	v_addc_co_u32_e32 v3, vcc, v7, v3, vcc
	flat_load_dwordx2 v[2:3], v[2:3]
	v_and_b32_e32 v6, 0xffff, v5
	s_waitcnt vmcnt(0) lgkmcnt(0)
	v_mad_u64_u32 v[2:3], s[6:7], v6, s6, v[2:3]
	flat_load_dwordx2 a[14:15], v[2:3] offset:504
	flat_load_dwordx2 v[34:35], v[2:3] offset:608
	v_add_co_u32_e32 v2, vcc, 0x1f8, v2
	v_addc_co_u32_e32 v3, vcc, 0, v3, vcc
	v_cndmask_b32_e64 v27, 0, v3, s[4:5]
	v_cndmask_b32_e64 v26, 0, v2, s[4:5]
	s_mov_b32 s6, 1
	s_branch .LBB4_11
.LBB4_10:
	v_pk_mov_b32 v[26:27], v[18:19], v[18:19] op_sel:[0,1]
                                        ; implicit-def: $vgpr34_vgpr35
                                        ; implicit-def: $agpr14_agpr15
.LBB4_11:
	s_trap 2
	ds_read_b32 v2, v0
	s_waitcnt lgkmcnt(0)
	v_cmp_gt_i32_e32 vcc, 0, v2
	s_cbranch_vccnz .LBB4_13
; %bb.12:
	s_trap 2
	ds_read_b64 v[6:7], v0
	v_mov_b32_e32 v3, 0
	v_lshlrev_b64 v[2:3], 3, v[2:3]
	v_and_b32_e32 v5, 0xffff, v5
	s_movk_i32 s4, 0xa8
	s_waitcnt lgkmcnt(0)
	v_add_co_u32_e32 v2, vcc, v6, v2
	v_addc_co_u32_e32 v3, vcc, v7, v3, vcc
	flat_load_dwordx2 v[2:3], v[2:3]
	v_cmp_eq_u32_e32 vcc, 0, v1
	s_waitcnt vmcnt(0) lgkmcnt(0)
	v_mad_u64_u32 v[2:3], s[4:5], v5, s4, v[2:3]
	flat_load_dwordx2 v[36:37], v[2:3]
	flat_load_dwordx2 v[16:17], v[2:3] offset:104
	v_cndmask_b32_e32 v19, 0, v3, vcc
	v_cndmask_b32_e32 v18, 0, v2, vcc
	s_branch .LBB4_14
.LBB4_13:
                                        ; implicit-def: $vgpr16_vgpr17
                                        ; implicit-def: $vgpr36_vgpr37
.LBB4_14:
	v_subrev_u32_e32 v2, 64, v20
	v_pk_mov_b32 v[12:13], 0, 0
	v_cmp_le_i32_e32 vcc, v2, v24
	v_cmp_gt_i32_e64 s[4:5], s6, v1
	v_accvgpr_write_b32 a17, v13
	s_and_b64 s[24:25], vcc, s[4:5]
	v_accvgpr_write_b32 a16, v12
                                        ; implicit-def: $vgpr38_vgpr39
	s_and_saveexec_b64 s[4:5], s[24:25]
	s_cbranch_execz .LBB4_16
; %bb.15:
	flat_load_dwordx2 a[16:17], v[26:27] offset:56
	flat_load_dwordx2 v[38:39], v[26:27] offset:104
.LBB4_16:
	s_or_b64 exec, exec, s[4:5]
	v_cmp_gt_i32_e64 s[4:5], s6, v24
	v_pk_mov_b32 v[50:51], v[12:13], v[12:13] op_sel:[0,1]
                                        ; implicit-def: $vgpr52_vgpr53
	s_and_saveexec_b64 s[6:7], s[4:5]
	s_cbranch_execz .LBB4_18
; %bb.17:
	flat_load_dwordx2 v[50:51], v[18:19] offset:56
	s_waitcnt vmcnt(0) lgkmcnt(0)
	flat_load_dwordx2 v[52:53], v[50:51] glc
	s_waitcnt vmcnt(0)
	flat_load_dwordx4 v[12:15], v[18:19] offset:96
.LBB4_18:
	s_or_b64 exec, exec, s[6:7]
	v_accvgpr_read_b32 v47, a3
	v_accvgpr_read_b32 v46, a2
	;; [unrolled: 1-line block ×4, first 2 shown]
	v_cmp_ne_u64_e32 vcc, 0, v[46:47]
	v_pk_mov_b32 v[40:41], 0, 0
	s_and_saveexec_b64 s[26:27], vcc
	s_cbranch_execz .LBB4_192
; %bb.19:
	v_add_co_u32_e32 v1, vcc, v8, v44
	s_ashr_i32 s6, s8, 31
	v_addc_co_u32_e32 v2, vcc, v9, v45, vcc
	s_lshr_b32 s6, s6, 29
	v_add_co_u32_e32 v44, vcc, v1, v10
	s_ashr_i32 s23, s22, 31
	s_add_i32 s8, s8, s6
	v_addc_co_u32_e32 v45, vcc, v2, v4, vcc
	s_lshl_b64 s[6:7], s[22:23], 2
	v_mov_b32_e32 v1, s7
	v_add_co_u32_e32 v2, vcc, s6, v22
	v_addc_co_u32_e32 v1, vcc, v23, v1, vcc
	v_add_co_u32_e32 v2, vcc, -4, v2
	v_addc_co_u32_e32 v3, vcc, -1, v1, vcc
	v_and_b32_e32 v1, 63, v31
	v_ashrrev_i32_e32 v21, 31, v20
	v_cmp_eq_u32_e64 s[12:13], 0, v1
	v_lshrrev_b32_e32 v1, 26, v21
	v_accvgpr_write_b32 a19, v3
	v_add_u32_e32 v1, v20, v1
	v_accvgpr_write_b32 a18, v2
	v_ashrrev_i32_e32 v2, 6, v1
	v_accvgpr_write_b32 a20, v2
	v_ashrrev_i32_e32 v1, 31, v2
	v_lshlrev_b32_e32 v2, 1, v24
	v_ashrrev_i32_e32 v3, 31, v2
	v_accvgpr_write_b32 a0, v11
	v_cmp_ne_u32_sdwa s[30:31], v11, v20 src0_sel:WORD_0 src1_sel:DWORD
	v_accvgpr_write_b32 a22, v2
	v_lshlrev_b64 v[10:11], 2, v[2:3]
	v_accvgpr_read_b32 v2, a6
	v_accvgpr_read_b32 v4, a8
	v_accvgpr_write_b32 a1, v1
	v_accvgpr_read_b32 v5, a9
	v_add_co_u32_e32 v1, vcc, v4, v10
	v_accvgpr_write_b32 a21, v1
	v_addc_co_u32_e32 v1, vcc, v5, v11, vcc
	v_mov_b32_e32 v42, 0
	v_accvgpr_read_b32 v3, a7
	v_accvgpr_write_b32 a23, v1
	v_add_co_u32_e32 v1, vcc, v2, v10
	v_accvgpr_write_b32 a26, v1
	v_addc_co_u32_e32 v1, vcc, v3, v11, vcc
	v_and_b32_e32 v2, 3, v2
	v_mov_b32_e32 v3, v42
	v_cmp_eq_u64_e64 s[16:17], 0, v[2:3]
	v_accvgpr_read_b32 v2, a4
	v_accvgpr_read_b32 v3, a5
	v_lshlrev_b64 v[2:3], 2, v[2:3]
	v_accvgpr_write_b32 a27, v1
	v_add_co_u32_e32 v1, vcc, v2, v10
	v_and_b32_e32 v6, 0x7ffffc, v0
	v_addc_co_u32_e32 v2, vcc, v3, v11, vcc
	v_lshlrev_b32_e32 v0, 2, v0
	v_add_co_u32_e32 v30, vcc, v4, v1
	v_and_b32_e32 v0, 0x1fffff0, v0
	v_addc_co_u32_e32 v33, vcc, v5, v2, vcc
	v_accvgpr_write_b32 a28, v0
	v_lshlrev_b64 v[0:1], 4, v[24:25]
	s_waitcnt vmcnt(0) lgkmcnt(0)
	v_add_co_u32_e32 v0, vcc, v36, v0
	v_mov_b32_e32 v7, v42
	s_ashr_i32 s10, s8, 3
	v_accvgpr_write_b32 a29, v0
	v_addc_co_u32_e32 v0, vcc, v37, v1, vcc
	s_ashr_i32 s54, s8, 7
	s_and_b32 s23, s10, -16
	v_pk_mov_b32 v[8:9], v[6:7], v[6:7] op_sel:[0,1]
	v_lshlrev_b32_e32 v60, 1, v20
	v_accvgpr_read_b32 v6, a16
	v_accvgpr_write_b32 a25, v11
	v_accvgpr_write_b32 a30, v0
	v_lshlrev_b64 v[0:1], 2, v[44:45]
	v_accvgpr_write_b32 a12, v26
	v_accvgpr_write_b32 a10, v18
	v_ashrrev_i32_e32 v61, 31, v60
	s_cmp_gt_i32 s22, 2
	v_accvgpr_read_b32 v7, a17
	v_accvgpr_write_b32 a24, v10
	v_accvgpr_write_b32 a33, v1
	v_pk_mov_b32 v[10:11], 0, 0
	v_accvgpr_write_b32 a13, v27
	v_accvgpr_write_b32 a11, v19
	s_mov_b64 s[28:29], 0
	v_cmp_ne_u64_e64 s[6:7], 0, v[50:51]
	v_cmp_ne_u64_e64 s[8:9], 0, v[12:13]
	v_cmp_ne_u32_e64 s[10:11], 64, v20
	s_cselect_b64 s[34:35], -1, 0
	v_cmp_ne_u64_e64 s[14:15], 0, v[6:7]
	s_movk_i32 s55, 0x2710
	s_mov_b64 s[36:37], 0x7ffffff8
	v_mov_b32_e32 v62, 0
	v_accvgpr_write_b32 a32, v0
	v_lshlrev_b64 v[58:59], 2, v[60:61]
	v_lshlrev_b64 v[28:29], 4, v[20:21]
	v_pk_mov_b32 v[40:41], v[10:11], v[10:11] op_sel:[0,1]
	v_pk_mov_b32 v[4:5], v[46:47], v[46:47] op_sel:[0,1]
	s_branch .LBB4_21
.LBB4_20:                               ;   in Loop: Header=BB4_21 Depth=1
	s_or_b64 exec, exec, s[18:19]
	v_add_co_u32_e32 v34, vcc, 1, v34
	v_addc_co_u32_e32 v35, vcc, 0, v35, vcc
	v_add_co_u32_e32 v10, vcc, v10, v8
	v_addc_co_u32_e32 v11, vcc, 0, v11, vcc
	v_cmp_ge_u64_e32 vcc, v[10:11], v[4:5]
	v_accvgpr_read_b32 v0, a28
	s_or_b64 s[28:29], vcc, s[28:29]
	v_add_co_u32_e32 v30, vcc, v30, v0
	v_addc_co_u32_e32 v33, vcc, 0, v33, vcc
	s_andn2_b64 exec, exec, s[28:29]
	s_cbranch_execz .LBB4_191
.LBB4_21:                               ; =>This Loop Header: Depth=1
                                        ;     Child Loop BB4_28 Depth 2
                                        ;     Child Loop BB4_45 Depth 2
	;; [unrolled: 1-line block ×5, first 2 shown]
                                        ;       Child Loop BB4_83 Depth 3
                                        ;       Child Loop BB4_99 Depth 3
	;; [unrolled: 1-line block ×3, first 2 shown]
                                        ;         Child Loop BB4_120 Depth 4
                                        ;       Child Loop BB4_134 Depth 3
                                        ;       Child Loop BB4_76 Depth 3
                                        ;     Child Loop BB4_149 Depth 2
                                        ;       Child Loop BB4_155 Depth 3
                                        ;     Child Loop BB4_178 Depth 2
	v_accvgpr_read_b32 v0, a18
	v_accvgpr_read_b32 v1, a19
	flat_load_dword v2, v[0:1]
	v_sub_co_u32_e32 v0, vcc, v4, v10
	v_subb_co_u32_e32 v1, vcc, v5, v11, vcc
	v_cmp_lt_u64_e32 vcc, v[8:9], v[0:1]
	v_cndmask_b32_e32 v3, v0, v8, vcc
	v_lshl_add_u32 v0, v3, 3, 8
	v_and_b32_e32 v0, 0x7fffff0, v0
	v_accvgpr_write_b32 a31, v0
	s_and_saveexec_b64 s[18:19], s[6:7]
	s_cbranch_execz .LBB4_37
; %bb.22:                               ;   in Loop: Header=BB4_21 Depth=1
	v_add_co_u32_e32 v0, vcc, 1, v14
	v_addc_co_u32_e32 v1, vcc, 0, v15, vcc
	v_add_co_u32_e32 v4, vcc, 8, v52
	v_addc_co_u32_e32 v5, vcc, 0, v53, vcc
	v_cmp_lt_u64_e32 vcc, v[4:5], v[0:1]
	s_and_saveexec_b64 s[20:21], vcc
	s_cbranch_execz .LBB4_34
; %bb.23:                               ;   in Loop: Header=BB4_21 Depth=1
	s_sleep 1
	flat_load_dwordx2 v[52:53], v[50:51] glc
	v_cmp_eq_u32_e32 vcc, 0, v62
	s_and_saveexec_b64 s[38:39], vcc
	s_cbranch_execz .LBB4_33
; %bb.24:                               ;   in Loop: Header=BB4_21 Depth=1
	v_cndmask_b32_e64 v4, 0, 1, vcc
	s_mov_b64 s[40:41], 0
                                        ; implicit-def: $sgpr42_sgpr43
	s_branch .LBB4_28
.LBB4_25:                               ;   in Loop: Header=BB4_28 Depth=2
	s_or_b64 exec, exec, s[50:51]
	s_orn2_b64 s[48:49], s[48:49], exec
.LBB4_26:                               ;   in Loop: Header=BB4_28 Depth=2
	s_or_b64 exec, exec, s[46:47]
	s_xor_b64 vcc, s[48:49], -1
	s_andn2_b64 s[42:43], s[42:43], exec
	s_and_b64 vcc, vcc, exec
	s_or_b64 s[42:43], s[42:43], vcc
.LBB4_27:                               ;   in Loop: Header=BB4_28 Depth=2
	s_or_b64 exec, exec, s[44:45]
	s_and_b64 vcc, exec, s[42:43]
	s_or_b64 s[40:41], vcc, s[40:41]
	s_andn2_b64 exec, exec, s[40:41]
	s_cbranch_execz .LBB4_32
.LBB4_28:                               ;   Parent Loop BB4_21 Depth=1
                                        ; =>  This Inner Loop Header: Depth=2
	s_waitcnt vmcnt(0) lgkmcnt(0)
	v_add_co_u32_e32 v6, vcc, 8, v52
	v_addc_co_u32_e32 v7, vcc, 0, v53, vcc
	v_cmp_lt_u64_e32 vcc, v[6:7], v[0:1]
	v_mov_b32_e32 v62, 0
	s_or_b64 s[42:43], s[42:43], exec
	s_and_saveexec_b64 s[44:45], vcc
	s_cbranch_execz .LBB4_27
; %bb.29:                               ;   in Loop: Header=BB4_28 Depth=2
	s_sleep 1
	flat_load_dwordx2 v[52:53], v[50:51] glc
	v_add_u32_e32 v4, 1, v4
	v_cmp_eq_u32_e32 vcc, s55, v4
	s_mov_b64 s[48:49], -1
	v_mov_b32_e32 v62, 0
	s_and_saveexec_b64 s[46:47], vcc
	s_cbranch_execz .LBB4_26
; %bb.30:                               ;   in Loop: Header=BB4_28 Depth=2
	s_trap 2
	ds_read_b64 v[4:5], v0
	v_mov_b32_e32 v62, 0
	s_waitcnt vmcnt(0) lgkmcnt(0)
	flat_load_dword v5, v[4:5] glc
	s_waitcnt vmcnt(0) lgkmcnt(0)
	buffer_invl2
	buffer_wbinvl1_vol
	v_mov_b32_e32 v4, 0
	v_cmp_ne_u32_e32 vcc, 0, v5
	s_and_saveexec_b64 s[50:51], vcc
	s_cbranch_execz .LBB4_25
; %bb.31:                               ;   in Loop: Header=BB4_28 Depth=2
	v_mov_b32_e32 v62, 1
	s_xor_b64 s[48:49], exec, -1
	ds_write_b32 v0, v5
	s_trap 2
	s_branch .LBB4_25
.LBB4_32:                               ;   in Loop: Header=BB4_21 Depth=1
	s_or_b64 exec, exec, s[40:41]
.LBB4_33:                               ;   in Loop: Header=BB4_21 Depth=1
	s_or_b64 exec, exec, s[38:39]
.LBB4_34:                               ;   in Loop: Header=BB4_21 Depth=1
	s_or_b64 exec, exec, s[20:21]
	s_and_saveexec_b64 s[20:21], s[8:9]
	s_cbranch_execz .LBB4_36
; %bb.35:                               ;   in Loop: Header=BB4_21 Depth=1
	v_and_b32_e32 v4, 0x7ffffff8, v14
	v_mov_b32_e32 v5, v42
	v_mov_b32_e32 v6, s23
	v_cmp_eq_u64_e32 vcc, s[36:37], v[4:5]
	v_accvgpr_read_b32 v4, a31
	v_cndmask_b32_e32 v4, v4, v6, vcc
	v_and_b32_e32 v6, 7, v14
	v_ashrrev_i32_e32 v5, 31, v4
	v_mad_u64_u32 v[6:7], vcc, v6, 24, v[12:13]
	flat_store_dwordx2 v[6:7], v[4:5] offset:8
	s_waitcnt vmcnt(0)
.LBB4_36:                               ;   in Loop: Header=BB4_21 Depth=1
	s_or_b64 exec, exec, s[20:21]
	v_pk_mov_b32 v[14:15], v[0:1], v[0:1] op_sel:[0,1]
.LBB4_37:                               ;   in Loop: Header=BB4_21 Depth=1
	s_or_b64 exec, exec, s[18:19]
	s_and_saveexec_b64 s[18:19], s[10:11]
	s_cbranch_execz .LBB4_56
; %bb.38:                               ;   in Loop: Header=BB4_21 Depth=1
	s_and_saveexec_b64 s[20:21], s[30:31]
	s_xor_b64 s[20:21], exec, s[20:21]
	s_cbranch_execz .LBB4_53
; %bb.39:                               ;   in Loop: Header=BB4_21 Depth=1
	s_and_saveexec_b64 s[38:39], s[12:13]
	s_cbranch_execz .LBB4_52
; %bb.40:                               ;   in Loop: Header=BB4_21 Depth=1
	s_mov_b64 s[42:43], exec
	v_mbcnt_lo_u32_b32 v0, s42, 0
	v_mbcnt_hi_u32_b32 v0, s43, v0
	v_cmp_eq_u32_e32 vcc, 0, v0
	s_waitcnt vmcnt(0) lgkmcnt(0)
	buffer_wbinvl1_vol
	s_and_saveexec_b64 s[40:41], vcc
	s_cbranch_execz .LBB4_42
; %bb.41:                               ;   in Loop: Header=BB4_21 Depth=1
	s_bcnt1_i32_b64 vcc_lo, s[42:43]
	v_mov_b32_e32 v0, vcc_lo
	v_mov_b32_e32 v1, v42
	ds_add_u64 v0, v[0:1]
	s_trap 2
.LBB4_42:                               ;   in Loop: Header=BB4_21 Depth=1
	s_or_b64 exec, exec, s[40:41]
	s_trap 2
	ds_read_b64 v[0:1], v0
	v_accvgpr_read_b32 v4, a20
	v_add_co_u32_e32 v40, vcc, v40, v4
	v_accvgpr_read_b32 v5, a1
	v_addc_co_u32_e32 v41, vcc, v41, v5, vcc
	s_waitcnt lgkmcnt(0)
	v_cmp_lt_u64_e32 vcc, v[0:1], v[40:41]
	s_and_saveexec_b64 s[40:41], vcc
	s_cbranch_execz .LBB4_51
; %bb.43:                               ;   in Loop: Header=BB4_21 Depth=1
	s_mov_b32 s52, 0
	s_mov_b64 s[42:43], 0
                                        ; implicit-def: $sgpr44_sgpr45
                                        ; implicit-def: $sgpr46_sgpr47
	s_branch .LBB4_45
.LBB4_44:                               ;   in Loop: Header=BB4_45 Depth=2
	s_or_b64 exec, exec, s[50:51]
	s_and_b64 vcc, exec, vcc
	s_or_b64 s[42:43], vcc, s[42:43]
	s_andn2_b64 vcc, s[44:45], exec
	s_and_b64 s[44:45], s[46:47], exec
	s_or_b64 s[44:45], vcc, s[44:45]
	s_andn2_b64 exec, exec, s[42:43]
	s_cbranch_execz .LBB4_49
.LBB4_45:                               ;   Parent Loop BB4_21 Depth=1
                                        ; =>  This Inner Loop Header: Depth=2
	s_add_i32 s52, s52, 1
	s_cmpk_lg_i32 s52, 0x2710
	s_cselect_b64 s[48:49], -1, 0
	s_and_b64 vcc, exec, s[48:49]
                                        ; implicit-def: $sgpr50_sgpr51
	s_cbranch_vccnz .LBB4_47
; %bb.46:                               ;   in Loop: Header=BB4_45 Depth=2
	s_trap 2
	ds_read_b64 v[0:1], v0
	s_andn2_b64 s[48:49], s[48:49], exec
	s_mov_b32 s52, 0
	s_mov_b64 s[50:51], -1
	s_waitcnt lgkmcnt(0)
	flat_load_dword v0, v[0:1] glc
	s_waitcnt vmcnt(0) lgkmcnt(0)
	buffer_invl2
	buffer_wbinvl1_vol
	v_cmp_eq_u32_e32 vcc, 0, v0
	s_and_b64 vcc, vcc, exec
	s_or_b64 s[48:49], s[48:49], vcc
.LBB4_47:                               ;   in Loop: Header=BB4_45 Depth=2
	s_andn2_b64 s[46:47], s[46:47], exec
	s_and_b64 s[50:51], s[50:51], exec
	s_mov_b64 vcc, -1
	s_or_b64 s[46:47], s[46:47], s[50:51]
	s_and_saveexec_b64 s[50:51], s[48:49]
	s_cbranch_execz .LBB4_44
; %bb.48:                               ;   in Loop: Header=BB4_45 Depth=2
	s_sleep 1
	s_trap 2
	ds_read_b64 v[0:1], v0
	s_andn2_b64 s[46:47], s[46:47], exec
	s_waitcnt lgkmcnt(0)
	v_cmp_ge_u64_e32 vcc, v[0:1], v[40:41]
	s_orn2_b64 vcc, vcc, exec
	s_branch .LBB4_44
.LBB4_49:                               ;   in Loop: Header=BB4_21 Depth=1
	s_or_b64 exec, exec, s[42:43]
	s_and_saveexec_b64 vcc, s[44:45]
	s_xor_b64 vcc, exec, vcc
	s_cbranch_execz .LBB4_51
; %bb.50:                               ;   in Loop: Header=BB4_21 Depth=1
	v_mov_b32_e32 v0, 1
	ds_write_b32 v0, v0
	s_trap 2
.LBB4_51:                               ;   in Loop: Header=BB4_21 Depth=1
	s_or_b64 exec, exec, s[40:41]
	;;#ASMSTART
	s_wakeup
	;;#ASMEND
.LBB4_52:                               ;   in Loop: Header=BB4_21 Depth=1
	s_or_b64 exec, exec, s[38:39]
.LBB4_53:                               ;   in Loop: Header=BB4_21 Depth=1
	s_andn2_saveexec_b64 s[20:21], s[20:21]
	s_cbranch_execz .LBB4_55
; %bb.54:                               ;   in Loop: Header=BB4_21 Depth=1
	s_waitcnt vmcnt(0) lgkmcnt(0)
	buffer_wbinvl1_vol
	s_barrier
.LBB4_55:                               ;   in Loop: Header=BB4_21 Depth=1
	s_or_b64 exec, exec, s[20:21]
.LBB4_56:                               ;   in Loop: Header=BB4_21 Depth=1
	s_or_b64 exec, exec, s[18:19]
	v_accvgpr_read_b32 v0, a22
	v_accvgpr_write_b32 a35, v11
	v_accvgpr_write_b32 a6, v8
	v_sub_u32_e32 v32, v3, v0
	v_accvgpr_write_b32 a34, v10
	v_accvgpr_write_b32 a7, v9
	v_cmp_lt_i32_e64 s[18:19], 0, v32
	v_and_b32_e32 v1, 7, v16
	v_mov_b32_e32 v0, v24
	s_and_saveexec_b64 s[20:21], s[18:19]
	s_cbranch_execz .LBB4_62
; %bb.57:                               ;   in Loop: Header=BB4_21 Depth=1
	v_accvgpr_read_b32 v8, a32
	s_waitcnt vmcnt(0) lgkmcnt(0)
	v_ashrrev_i32_e32 v0, 31, v2
	v_mul_lo_u32 v4, v1, s54
	v_mov_b32_e32 v3, v16
	v_add_co_u32_e64 v6, vcc, 0, 0
	v_accvgpr_read_b32 v9, a33
	v_ashrrev_i32_e32 v5, 31, v4
	v_addc_co_u32_e32 v3, vcc, 1, v3, vcc
	v_mul_lo_u32 v7, v9, v2
	v_mul_lo_u32 v0, v8, v0
	v_mad_u64_u32 v[10:11], vcc, v8, v2, 0
	v_add3_u32 v11, v11, v0, v7
	v_lshlrev_b64 v[4:5], 4, v[4:5]
	v_accvgpr_read_b32 v0, a29
	v_add_co_u32_e32 v18, vcc, v0, v4
	v_accvgpr_read_b32 v0, a30
	v_addc_co_u32_e32 v19, vcc, v0, v5, vcc
	s_mov_b64 s[38:39], 0
	v_mov_b32_e32 v7, v32
	v_mov_b32_e32 v0, v24
                                        ; implicit-def: $vgpr8_vgpr9
	s_branch .LBB4_59
.LBB4_58:                               ;   in Loop: Header=BB4_59 Depth=2
	s_or_b64 exec, exec, s[40:41]
	v_add_co_u32_e32 v10, vcc, v10, v58
	s_waitcnt vmcnt(0)
	v_mov_b32_e32 v4, v9
	v_sub_u32_e32 v7, v7, v60
	v_addc_co_u32_e32 v11, vcc, v11, v59, vcc
	v_or_b32_e32 v2, v6, v2
	v_or_b32_e32 v4, v4, v6
	v_mov_b32_e32 v5, v3
	v_cmp_gt_i32_e32 vcc, 1, v7
	global_store_dwordx4 v[18:19], v[2:5], off
	s_or_b64 s[38:39], vcc, s[38:39]
	v_add_co_u32_e32 v18, vcc, v18, v28
	v_add_u32_e32 v0, v0, v20
	v_addc_co_u32_e32 v19, vcc, v19, v29, vcc
	s_andn2_b64 exec, exec, s[38:39]
	s_cbranch_execz .LBB4_61
.LBB4_59:                               ;   Parent Loop BB4_21 Depth=1
                                        ; =>  This Inner Loop Header: Depth=2
	v_add_co_u32_e32 v4, vcc, v30, v10
	v_addc_co_u32_e32 v5, vcc, v33, v11, vcc
	global_load_dword v2, v[4:5], off glc slc
	v_cmp_ne_u32_e32 vcc, 1, v7
	s_and_saveexec_b64 s[40:41], vcc
	s_cbranch_execz .LBB4_58
; %bb.60:                               ;   in Loop: Header=BB4_59 Depth=2
	global_load_dword v9, v[4:5], off offset:4 glc slc
	s_branch .LBB4_58
.LBB4_61:                               ;   in Loop: Header=BB4_21 Depth=1
	s_or_b64 exec, exec, s[38:39]
.LBB4_62:                               ;   in Loop: Header=BB4_21 Depth=1
	s_or_b64 exec, exec, s[20:21]
	s_waitcnt vmcnt(0) lgkmcnt(0)
	v_and_b32_e32 v2, 0x7ffffff8, v16
	v_mov_b32_e32 v3, v42
	v_cmp_eq_u64_e32 vcc, s[36:37], v[2:3]
	v_cmp_gt_i32_e64 s[20:21], s54, v0
	s_and_b64 s[20:21], vcc, s[20:21]
	s_and_saveexec_b64 s[38:39], s[20:21]
	s_cbranch_execz .LBB4_65
; %bb.63:                               ;   in Loop: Header=BB4_21 Depth=1
	v_mul_lo_u32 v4, v1, s54
	v_mov_b32_e32 v1, v16
	v_add_co_u32_e64 v2, vcc, 0, 0
	v_ashrrev_i32_e32 v5, 31, v4
	v_addc_co_u32_e32 v3, vcc, 1, v1, vcc
	v_ashrrev_i32_e32 v1, 31, v0
	v_lshlrev_b64 v[6:7], 4, v[0:1]
	v_lshlrev_b64 v[4:5], 4, v[4:5]
	v_add_co_u32_e32 v1, vcc, v6, v4
	v_addc_co_u32_e32 v4, vcc, v7, v5, vcc
	v_add_co_u32_e32 v10, vcc, v36, v1
	v_addc_co_u32_e32 v11, vcc, v37, v4, vcc
	s_mov_b64 s[40:41], 0
.LBB4_64:                               ;   Parent Loop BB4_21 Depth=1
                                        ; =>  This Inner Loop Header: Depth=2
	v_mov_b32_e32 v4, v2
	v_mov_b32_e32 v5, v3
	v_add_u32_e32 v0, v0, v20
	global_store_dwordx4 v[10:11], v[2:5], off
	v_cmp_le_i32_e32 vcc, s54, v0
	v_add_co_u32_e64 v10, s[20:21], v10, v28
	s_or_b64 s[40:41], vcc, s[40:41]
	v_addc_co_u32_e64 v11, vcc, v11, v29, s[20:21]
	s_andn2_b64 exec, exec, s[40:41]
	s_cbranch_execnz .LBB4_64
.LBB4_65:                               ;   in Loop: Header=BB4_21 Depth=1
	s_or_b64 exec, exec, s[38:39]
	v_accvgpr_read_b32 v0, a4
	v_accvgpr_read_b32 v2, a34
	;; [unrolled: 1-line block ×4, first 2 shown]
	v_add_co_u32_e32 v0, vcc, v2, v0
	v_addc_co_u32_e32 v1, vcc, v3, v1, vcc
	v_add_co_u32_e32 v10, vcc, 1, v16
	v_addc_co_u32_e32 v11, vcc, 0, v17, vcc
	s_andn2_b64 vcc, exec, s[34:35]
	v_lshlrev_b64 v[6:7], 2, v[0:1]
	s_cbranch_vccnz .LBB4_145
; %bb.66:                               ;   in Loop: Header=BB4_21 Depth=1
	v_accvgpr_read_b32 v0, a21
	v_add_co_u32_e32 v43, vcc, v0, v6
	v_accvgpr_read_b32 v0, a23
	v_accvgpr_write_b32 a37, v7
	s_mov_b32 s56, 2
	v_accvgpr_write_b32 a36, v6
	v_addc_co_u32_e32 v25, vcc, v0, v7, vcc
	v_add_u16_e32 v6, 1, v16
	s_branch .LBB4_68
.LBB4_67:                               ;   in Loop: Header=BB4_68 Depth=2
	s_or_b64 exec, exec, s[38:39]
	v_add_co_u32_e32 v34, vcc, 1, v34
	v_addc_co_u32_e32 v35, vcc, 0, v35, vcc
	s_add_i32 s56, s56, 1
	v_add_co_u32_e32 v10, vcc, 1, v10
	v_addc_co_u32_e32 v11, vcc, 0, v11, vcc
	s_cmp_eq_u32 s56, s22
	v_add_u16_e32 v6, 1, v6
	s_cbranch_scc1 .LBB4_146
.LBB4_68:                               ;   Parent Loop BB4_21 Depth=1
                                        ; =>  This Loop Header: Depth=2
                                        ;       Child Loop BB4_83 Depth 3
                                        ;       Child Loop BB4_99 Depth 3
	;; [unrolled: 1-line block ×3, first 2 shown]
                                        ;         Child Loop BB4_120 Depth 4
                                        ;       Child Loop BB4_134 Depth 3
                                        ;       Child Loop BB4_76 Depth 3
	s_sub_i32 s20, s22, s56
	s_ashr_i32 s21, s20, 31
	s_lshl_b64 s[20:21], s[20:21], 2
	v_mov_b32_e32 v1, s21
	v_add_co_u32_e32 v0, vcc, s20, v22
	v_addc_co_u32_e32 v1, vcc, v23, v1, vcc
	flat_load_dword v2, v[0:1]
	s_and_saveexec_b64 s[20:21], s[6:7]
	s_cbranch_execnz .LBB4_77
; %bb.69:                               ;   in Loop: Header=BB4_68 Depth=2
	s_or_b64 exec, exec, s[20:21]
	s_and_saveexec_b64 s[20:21], s[10:11]
	s_cbranch_execnz .LBB4_92
.LBB4_70:                               ;   in Loop: Header=BB4_68 Depth=2
	s_or_b64 exec, exec, s[20:21]
	v_mov_b32_e32 v0, v24
	s_and_saveexec_b64 s[38:39], s[18:19]
	s_cbranch_execnz .LBB4_110
.LBB4_71:                               ;   in Loop: Header=BB4_68 Depth=2
	s_or_b64 exec, exec, s[38:39]
	s_and_saveexec_b64 s[20:21], s[10:11]
	s_cbranch_execnz .LBB4_127
.LBB4_72:                               ;   in Loop: Header=BB4_68 Depth=2
	s_or_b64 exec, exec, s[20:21]
	s_and_saveexec_b64 s[20:21], s[14:15]
	s_cbranch_execz .LBB4_74
.LBB4_73:                               ;   in Loop: Header=BB4_68 Depth=2
	v_add_co_u32_e32 v38, vcc, 1, v38
	s_waitcnt vmcnt(0) lgkmcnt(0)
	v_accvgpr_read_b32 v2, a16
	v_addc_co_u32_e32 v39, vcc, 0, v39, vcc
	v_accvgpr_read_b32 v3, a17
	flat_store_dwordx2 v[2:3], v[38:39]
.LBB4_74:                               ;   in Loop: Header=BB4_68 Depth=2
	s_or_b64 exec, exec, s[20:21]
	s_waitcnt vmcnt(0) lgkmcnt(0)
	v_and_b32_e32 v2, 0x7ffffff8, v10
	v_mov_b32_e32 v3, v42
	v_cmp_eq_u64_e32 vcc, s[36:37], v[2:3]
	v_cmp_gt_i32_e64 s[20:21], s54, v0
	s_and_b64 s[20:21], vcc, s[20:21]
	s_and_saveexec_b64 s[38:39], s[20:21]
	s_cbranch_execz .LBB4_67
; %bb.75:                               ;   in Loop: Header=BB4_68 Depth=2
	v_and_b32_e32 v1, 7, v6
	v_mul_lo_u32 v2, s54, v1
	v_ashrrev_i32_e32 v3, 31, v2
	v_lshlrev_b64 v[4:5], 4, v[2:3]
	v_mov_b32_e32 v1, v10
	v_add_co_u32_e64 v2, vcc, 0, 0
	v_addc_co_u32_e32 v3, vcc, 1, v1, vcc
	v_ashrrev_i32_e32 v1, 31, v0
	v_lshlrev_b64 v[16:17], 4, v[0:1]
	v_add_co_u32_e32 v1, vcc, v16, v4
	v_addc_co_u32_e32 v4, vcc, v17, v5, vcc
	v_add_co_u32_e32 v16, vcc, v36, v1
	v_addc_co_u32_e32 v17, vcc, v37, v4, vcc
	s_mov_b64 s[40:41], 0
.LBB4_76:                               ;   Parent Loop BB4_21 Depth=1
                                        ;     Parent Loop BB4_68 Depth=2
                                        ; =>    This Inner Loop Header: Depth=3
	v_mov_b32_e32 v4, v2
	v_mov_b32_e32 v5, v3
	v_add_u32_e32 v0, v0, v20
	global_store_dwordx4 v[16:17], v[2:5], off
	v_cmp_le_i32_e32 vcc, s54, v0
	v_add_co_u32_e64 v16, s[20:21], v16, v28
	s_or_b64 s[40:41], vcc, s[40:41]
	v_addc_co_u32_e64 v17, vcc, v17, v29, s[20:21]
	s_andn2_b64 exec, exec, s[40:41]
	s_cbranch_execnz .LBB4_76
	s_branch .LBB4_67
.LBB4_77:                               ;   in Loop: Header=BB4_68 Depth=2
	v_add_co_u32_e32 v0, vcc, 1, v14
	v_addc_co_u32_e32 v1, vcc, 0, v15, vcc
	v_add_co_u32_e32 v4, vcc, 8, v52
	v_addc_co_u32_e32 v5, vcc, 0, v53, vcc
	v_cmp_lt_u64_e32 vcc, v[4:5], v[0:1]
	s_and_saveexec_b64 s[38:39], vcc
	s_cbranch_execz .LBB4_89
; %bb.78:                               ;   in Loop: Header=BB4_68 Depth=2
	s_sleep 1
	flat_load_dwordx2 v[52:53], v[50:51] glc
	v_cmp_eq_u32_e32 vcc, 0, v62
	s_and_saveexec_b64 s[40:41], vcc
	s_cbranch_execz .LBB4_88
; %bb.79:                               ;   in Loop: Header=BB4_68 Depth=2
	v_cndmask_b32_e64 v3, 0, 1, vcc
	s_mov_b64 s[42:43], 0
                                        ; implicit-def: $sgpr44_sgpr45
	s_branch .LBB4_83
.LBB4_80:                               ;   in Loop: Header=BB4_83 Depth=3
	s_or_b64 exec, exec, s[52:53]
	s_orn2_b64 s[50:51], s[50:51], exec
.LBB4_81:                               ;   in Loop: Header=BB4_83 Depth=3
	s_or_b64 exec, exec, s[48:49]
	s_xor_b64 vcc, s[50:51], -1
	s_andn2_b64 s[44:45], s[44:45], exec
	s_and_b64 vcc, vcc, exec
	s_or_b64 s[44:45], s[44:45], vcc
.LBB4_82:                               ;   in Loop: Header=BB4_83 Depth=3
	s_or_b64 exec, exec, s[46:47]
	s_and_b64 vcc, exec, s[44:45]
	s_or_b64 s[42:43], vcc, s[42:43]
	s_andn2_b64 exec, exec, s[42:43]
	s_cbranch_execz .LBB4_87
.LBB4_83:                               ;   Parent Loop BB4_21 Depth=1
                                        ;     Parent Loop BB4_68 Depth=2
                                        ; =>    This Inner Loop Header: Depth=3
	s_waitcnt vmcnt(0) lgkmcnt(0)
	v_add_co_u32_e32 v4, vcc, 8, v52
	v_addc_co_u32_e32 v5, vcc, 0, v53, vcc
	v_cmp_lt_u64_e32 vcc, v[4:5], v[0:1]
	v_mov_b32_e32 v62, 0
	s_or_b64 s[44:45], s[44:45], exec
	s_and_saveexec_b64 s[46:47], vcc
	s_cbranch_execz .LBB4_82
; %bb.84:                               ;   in Loop: Header=BB4_83 Depth=3
	s_sleep 1
	flat_load_dwordx2 v[52:53], v[50:51] glc
	v_add_u32_e32 v3, 1, v3
	v_cmp_eq_u32_e32 vcc, s55, v3
	s_mov_b64 s[50:51], -1
	v_mov_b32_e32 v62, 0
	s_and_saveexec_b64 s[48:49], vcc
	s_cbranch_execz .LBB4_81
; %bb.85:                               ;   in Loop: Header=BB4_83 Depth=3
	s_trap 2
	ds_read_b64 v[4:5], v0
	v_mov_b32_e32 v3, 0
	v_mov_b32_e32 v62, 0
	s_waitcnt vmcnt(0) lgkmcnt(0)
	flat_load_dword v4, v[4:5] glc
	s_waitcnt vmcnt(0) lgkmcnt(0)
	buffer_invl2
	buffer_wbinvl1_vol
	v_cmp_ne_u32_e32 vcc, 0, v4
	s_and_saveexec_b64 s[52:53], vcc
	s_cbranch_execz .LBB4_80
; %bb.86:                               ;   in Loop: Header=BB4_83 Depth=3
	v_mov_b32_e32 v62, 1
	s_xor_b64 s[50:51], exec, -1
	ds_write_b32 v0, v4
	s_trap 2
	s_branch .LBB4_80
.LBB4_87:                               ;   in Loop: Header=BB4_68 Depth=2
	s_or_b64 exec, exec, s[42:43]
.LBB4_88:                               ;   in Loop: Header=BB4_68 Depth=2
	s_or_b64 exec, exec, s[40:41]
.LBB4_89:                               ;   in Loop: Header=BB4_68 Depth=2
	s_or_b64 exec, exec, s[38:39]
	s_and_saveexec_b64 s[38:39], s[8:9]
	s_cbranch_execz .LBB4_91
; %bb.90:                               ;   in Loop: Header=BB4_68 Depth=2
	v_and_b32_e32 v4, 0x7ffffff8, v14
	v_mov_b32_e32 v5, v42
	v_mov_b32_e32 v3, s23
	v_cmp_eq_u64_e32 vcc, s[36:37], v[4:5]
	v_accvgpr_read_b32 v4, a31
	v_cndmask_b32_e32 v4, v4, v3, vcc
	v_and_b32_e32 v3, 7, v14
	v_ashrrev_i32_e32 v5, 31, v4
	v_mad_u64_u32 v[14:15], vcc, v3, 24, v[12:13]
	flat_store_dwordx2 v[14:15], v[4:5] offset:8
	s_waitcnt vmcnt(0)
.LBB4_91:                               ;   in Loop: Header=BB4_68 Depth=2
	s_or_b64 exec, exec, s[38:39]
	v_pk_mov_b32 v[14:15], v[0:1], v[0:1] op_sel:[0,1]
	s_or_b64 exec, exec, s[20:21]
	s_and_saveexec_b64 s[20:21], s[10:11]
	s_cbranch_execz .LBB4_70
.LBB4_92:                               ;   in Loop: Header=BB4_68 Depth=2
	s_and_saveexec_b64 vcc, s[30:31]
	s_xor_b64 s[38:39], exec, vcc
	s_cbranch_execz .LBB4_107
; %bb.93:                               ;   in Loop: Header=BB4_68 Depth=2
	s_and_saveexec_b64 s[40:41], s[12:13]
	s_cbranch_execz .LBB4_106
; %bb.94:                               ;   in Loop: Header=BB4_68 Depth=2
	s_mov_b64 s[44:45], exec
	v_mbcnt_lo_u32_b32 v0, s44, 0
	v_mbcnt_hi_u32_b32 v0, s45, v0
	v_cmp_eq_u32_e32 vcc, 0, v0
	s_waitcnt vmcnt(0) lgkmcnt(0)
	buffer_wbinvl1_vol
	s_and_saveexec_b64 s[42:43], vcc
	s_cbranch_execz .LBB4_96
; %bb.95:                               ;   in Loop: Header=BB4_68 Depth=2
	s_bcnt1_i32_b64 vcc_lo, s[44:45]
	v_mov_b32_e32 v0, vcc_lo
	v_mov_b32_e32 v1, v42
	ds_add_u64 v0, v[0:1]
	s_trap 2
.LBB4_96:                               ;   in Loop: Header=BB4_68 Depth=2
	s_or_b64 exec, exec, s[42:43]
	s_trap 2
	ds_read_b64 v[0:1], v0
	v_accvgpr_read_b32 v4, a20
	v_add_co_u32_e32 v40, vcc, v40, v4
	v_accvgpr_read_b32 v3, a1
	v_addc_co_u32_e32 v41, vcc, v41, v3, vcc
	s_waitcnt lgkmcnt(0)
	v_cmp_lt_u64_e32 vcc, v[0:1], v[40:41]
	s_and_saveexec_b64 s[42:43], vcc
	s_cbranch_execz .LBB4_105
; %bb.97:                               ;   in Loop: Header=BB4_68 Depth=2
	s_mov_b32 s57, 0
	s_mov_b64 s[44:45], 0
                                        ; implicit-def: $sgpr46_sgpr47
                                        ; implicit-def: $sgpr48_sgpr49
	s_branch .LBB4_99
.LBB4_98:                               ;   in Loop: Header=BB4_99 Depth=3
	s_or_b64 exec, exec, s[52:53]
	s_and_b64 vcc, exec, vcc
	s_or_b64 s[44:45], vcc, s[44:45]
	s_andn2_b64 vcc, s[46:47], exec
	s_and_b64 s[46:47], s[48:49], exec
	s_or_b64 s[46:47], vcc, s[46:47]
	s_andn2_b64 exec, exec, s[44:45]
	s_cbranch_execz .LBB4_103
.LBB4_99:                               ;   Parent Loop BB4_21 Depth=1
                                        ;     Parent Loop BB4_68 Depth=2
                                        ; =>    This Inner Loop Header: Depth=3
	s_add_i32 s57, s57, 1
	s_cmpk_lg_i32 s57, 0x2710
	s_cselect_b64 s[50:51], -1, 0
	s_and_b64 vcc, exec, s[50:51]
                                        ; implicit-def: $sgpr52_sgpr53
	s_cbranch_vccnz .LBB4_101
; %bb.100:                              ;   in Loop: Header=BB4_99 Depth=3
	s_trap 2
	ds_read_b64 v[0:1], v0
	s_andn2_b64 s[50:51], s[50:51], exec
	s_mov_b32 s57, 0
	s_mov_b64 s[52:53], -1
	s_waitcnt lgkmcnt(0)
	flat_load_dword v0, v[0:1] glc
	s_waitcnt vmcnt(0) lgkmcnt(0)
	buffer_invl2
	buffer_wbinvl1_vol
	v_cmp_eq_u32_e32 vcc, 0, v0
	s_and_b64 vcc, vcc, exec
	s_or_b64 s[50:51], s[50:51], vcc
.LBB4_101:                              ;   in Loop: Header=BB4_99 Depth=3
	s_andn2_b64 s[48:49], s[48:49], exec
	s_and_b64 s[52:53], s[52:53], exec
	s_mov_b64 vcc, -1
	s_or_b64 s[48:49], s[48:49], s[52:53]
	s_and_saveexec_b64 s[52:53], s[50:51]
	s_cbranch_execz .LBB4_98
; %bb.102:                              ;   in Loop: Header=BB4_99 Depth=3
	s_sleep 1
	s_trap 2
	ds_read_b64 v[0:1], v0
	s_andn2_b64 s[48:49], s[48:49], exec
	s_waitcnt lgkmcnt(0)
	v_cmp_ge_u64_e32 vcc, v[0:1], v[40:41]
	s_orn2_b64 vcc, vcc, exec
	s_branch .LBB4_98
.LBB4_103:                              ;   in Loop: Header=BB4_68 Depth=2
	s_or_b64 exec, exec, s[44:45]
	s_and_saveexec_b64 vcc, s[46:47]
	s_xor_b64 vcc, exec, vcc
	s_cbranch_execz .LBB4_105
; %bb.104:                              ;   in Loop: Header=BB4_68 Depth=2
	v_mov_b32_e32 v0, 1
	ds_write_b32 v0, v0
	s_trap 2
.LBB4_105:                              ;   in Loop: Header=BB4_68 Depth=2
	s_or_b64 exec, exec, s[42:43]
	;;#ASMSTART
	s_wakeup
	;;#ASMEND
.LBB4_106:                              ;   in Loop: Header=BB4_68 Depth=2
	s_or_b64 exec, exec, s[40:41]
.LBB4_107:                              ;   in Loop: Header=BB4_68 Depth=2
	s_andn2_saveexec_b64 vcc, s[38:39]
	s_cbranch_execz .LBB4_109
; %bb.108:                              ;   in Loop: Header=BB4_68 Depth=2
	s_waitcnt vmcnt(0) lgkmcnt(0)
	buffer_wbinvl1_vol
	s_barrier
.LBB4_109:                              ;   in Loop: Header=BB4_68 Depth=2
	s_or_b64 exec, exec, vcc
	s_or_b64 exec, exec, s[20:21]
	v_mov_b32_e32 v0, v24
	s_and_saveexec_b64 s[38:39], s[18:19]
	s_cbranch_execz .LBB4_71
.LBB4_110:                              ;   in Loop: Header=BB4_68 Depth=2
	s_waitcnt vmcnt(0) lgkmcnt(0)
	v_ashrrev_i32_e32 v0, 31, v2
	v_mul_lo_u32 v3, v45, v2
	v_mul_lo_u32 v4, v44, v0
	v_mad_u64_u32 v[0:1], s[20:21], v44, v2, 0
	v_add3_u32 v1, v1, v4, v3
	v_lshlrev_b64 v[0:1], 2, v[0:1]
	v_add_co_u32_e32 v56, vcc, v43, v0
	v_and_b32_e32 v0, 7, v34
	v_mul_lo_u32 v0, v0, s54
	v_addc_co_u32_e32 v57, vcc, v25, v1, vcc
	v_ashrrev_i32_e32 v1, 31, v0
	v_lshlrev_b64 v[0:1], 4, v[0:1]
	v_accvgpr_read_b32 v2, a14
	v_add_co_u32_e32 v7, vcc, v2, v0
	v_and_b32_e32 v0, 7, v10
	v_accvgpr_read_b32 v3, a15
	v_mul_lo_u32 v0, v0, s54
	v_addc_co_u32_e32 v21, vcc, v3, v1, vcc
	v_ashrrev_i32_e32 v1, 31, v0
	v_lshlrev_b64 v[0:1], 4, v[0:1]
	v_add_co_u32_e32 v47, vcc, v36, v0
	v_addc_co_u32_e32 v48, vcc, v37, v1, vcc
	v_mov_b32_e32 v1, v10
	v_add_co_u32_e64 v49, vcc, 0, 0
	v_add_u32_e32 v46, 1, v34
	v_addc_co_u32_e32 v3, vcc, 1, v1, vcc
	s_mov_b64 s[40:41], 0
	v_mov_b32_e32 v61, v32
	v_mov_b32_e32 v0, v24
                                        ; implicit-def: $vgpr54_vgpr55
	s_branch .LBB4_114
.LBB4_111:                              ;   in Loop: Header=BB4_114 Depth=3
	s_or_b64 exec, exec, s[46:47]
.LBB4_112:                              ;   in Loop: Header=BB4_114 Depth=3
	s_or_b64 exec, exec, s[44:45]
.LBB4_113:                              ;   in Loop: Header=BB4_114 Depth=3
	s_or_b64 exec, exec, s[42:43]
	v_add_co_u32_e32 v56, vcc, v56, v58
	v_addc_co_u32_e32 v57, vcc, v57, v59, vcc
	s_waitcnt vmcnt(0)
	v_add_u32_e32 v1, v16, v2
	v_add_co_u32_e32 v16, vcc, v47, v4
	v_addc_co_u32_e32 v17, vcc, v48, v5, vcc
	v_sub_u32_e32 v61, v61, v60
	v_or_b32_e32 v2, v49, v1
	v_add_u32_e32 v1, v18, v55
	v_cmp_gt_i32_e32 vcc, 1, v61
	v_or_b32_e32 v4, v49, v1
	v_mov_b32_e32 v5, v3
	s_or_b64 s[40:41], vcc, s[40:41]
	v_add_u32_e32 v0, v0, v20
	global_store_dwordx4 v[16:17], v[2:5], off
	s_andn2_b64 exec, exec, s[40:41]
	s_cbranch_execz .LBB4_126
.LBB4_114:                              ;   Parent Loop BB4_21 Depth=1
                                        ;     Parent Loop BB4_68 Depth=2
                                        ; =>    This Loop Header: Depth=3
                                        ;         Child Loop BB4_120 Depth 4
	global_load_dword v2, v[56:57], off glc slc
	v_cmp_ne_u32_e32 vcc, 1, v61
	s_and_saveexec_b64 s[20:21], vcc
	s_cbranch_execz .LBB4_116
; %bb.115:                              ;   in Loop: Header=BB4_114 Depth=3
	global_load_dword v55, v[56:57], off offset:4 glc slc
.LBB4_116:                              ;   in Loop: Header=BB4_114 Depth=3
	s_or_b64 exec, exec, s[20:21]
	v_ashrrev_i32_e32 v1, 31, v0
	v_lshlrev_b64 v[4:5], 4, v[0:1]
	v_add_co_u32_e32 v8, vcc, v7, v4
	v_addc_co_u32_e32 v9, vcc, v21, v5, vcc
	global_load_dwordx4 v[16:19], v[8:9], off glc slc
	v_cmp_eq_u32_e32 vcc, 0, v62
	s_and_saveexec_b64 s[42:43], vcc
	s_cbranch_execz .LBB4_113
; %bb.117:                              ;   in Loop: Header=BB4_114 Depth=3
	s_waitcnt vmcnt(0)
	v_cmp_ne_u32_e32 vcc, v46, v17
	v_cmp_ne_u32_e64 s[20:21], v46, v19
	s_or_b64 s[20:21], vcc, s[20:21]
	v_mov_b32_e32 v62, 0
	s_and_saveexec_b64 s[44:45], s[20:21]
	s_cbranch_execz .LBB4_112
; %bb.118:                              ;   in Loop: Header=BB4_114 Depth=3
	s_mov_b32 s50, 1
	s_mov_b64 s[46:47], 0
	v_mov_b32_e32 v62, 0
	s_branch .LBB4_120
.LBB4_119:                              ;   in Loop: Header=BB4_120 Depth=4
	s_or_b64 exec, exec, s[48:49]
	s_and_b64 s[20:21], exec, s[20:21]
	s_or_b64 s[46:47], s[20:21], s[46:47]
	s_andn2_b64 exec, exec, s[46:47]
	s_cbranch_execz .LBB4_111
.LBB4_120:                              ;   Parent Loop BB4_21 Depth=1
                                        ;     Parent Loop BB4_68 Depth=2
                                        ;       Parent Loop BB4_114 Depth=3
                                        ; =>      This Inner Loop Header: Depth=4
	global_load_dwordx4 v[16:19], v[8:9], off glc slc
	s_add_i32 s50, s50, 1
	s_cmpk_lg_i32 s50, 0x2710
	s_cbranch_scc1 .LBB4_124
; %bb.121:                              ;   in Loop: Header=BB4_120 Depth=4
	s_trap 2
	ds_read_b64 v[26:27], v0
	s_waitcnt vmcnt(0) lgkmcnt(0)
	flat_load_dword v1, v[26:27] glc
	s_waitcnt vmcnt(0) lgkmcnt(0)
	buffer_invl2
	buffer_wbinvl1_vol
	v_cmp_ne_u32_e32 vcc, 0, v1
	s_and_saveexec_b64 s[20:21], vcc
	s_cbranch_execz .LBB4_123
; %bb.122:                              ;   in Loop: Header=BB4_120 Depth=4
	v_mov_b32_e32 v62, 1
	ds_write_b32 v0, v1
	s_trap 2
.LBB4_123:                              ;   in Loop: Header=BB4_120 Depth=4
	s_or_b64 exec, exec, s[20:21]
	s_mov_b32 s50, 0
	v_mov_b32_e32 v1, v62
	v_cmp_eq_u32_e32 vcc, 0, v1
	s_mov_b64 s[20:21], -1
	s_and_saveexec_b64 s[48:49], vcc
	s_cbranch_execz .LBB4_119
	s_branch .LBB4_125
.LBB4_124:                              ;   in Loop: Header=BB4_120 Depth=4
	v_mov_b32_e32 v1, 0
	v_cmp_eq_u32_e32 vcc, 0, v1
	s_mov_b64 s[20:21], -1
	s_and_saveexec_b64 s[48:49], vcc
	s_cbranch_execz .LBB4_119
.LBB4_125:                              ;   in Loop: Header=BB4_120 Depth=4
	s_waitcnt vmcnt(0)
	v_cmp_eq_u32_e32 vcc, v46, v17
	v_cmp_eq_u32_e64 s[20:21], v46, v19
	s_and_b64 s[20:21], vcc, s[20:21]
	s_orn2_b64 s[20:21], s[20:21], exec
	s_branch .LBB4_119
.LBB4_126:                              ;   in Loop: Header=BB4_68 Depth=2
	s_or_b64 exec, exec, s[40:41]
	s_or_b64 exec, exec, s[38:39]
	s_and_saveexec_b64 s[20:21], s[10:11]
	s_cbranch_execz .LBB4_72
.LBB4_127:                              ;   in Loop: Header=BB4_68 Depth=2
	s_and_saveexec_b64 vcc, s[30:31]
	s_xor_b64 s[38:39], exec, vcc
	s_cbranch_execz .LBB4_142
; %bb.128:                              ;   in Loop: Header=BB4_68 Depth=2
	s_and_saveexec_b64 s[40:41], s[12:13]
	s_cbranch_execz .LBB4_141
; %bb.129:                              ;   in Loop: Header=BB4_68 Depth=2
	s_mov_b64 s[44:45], exec
	v_mbcnt_lo_u32_b32 v1, s44, 0
	v_mbcnt_hi_u32_b32 v1, s45, v1
	v_cmp_eq_u32_e32 vcc, 0, v1
	s_waitcnt vmcnt(0) lgkmcnt(0)
	buffer_wbinvl1_vol
	s_and_saveexec_b64 s[42:43], vcc
	s_cbranch_execz .LBB4_131
; %bb.130:                              ;   in Loop: Header=BB4_68 Depth=2
	s_bcnt1_i32_b64 vcc_lo, s[44:45]
	v_mov_b32_e32 v2, vcc_lo
	v_mov_b32_e32 v3, v42
	ds_add_u64 v0, v[2:3]
	s_trap 2
.LBB4_131:                              ;   in Loop: Header=BB4_68 Depth=2
	s_or_b64 exec, exec, s[42:43]
	s_trap 2
	ds_read_b64 v[2:3], v0
	v_accvgpr_read_b32 v4, a20
	v_add_co_u32_e32 v40, vcc, v40, v4
	v_accvgpr_read_b32 v1, a1
	v_addc_co_u32_e32 v41, vcc, v41, v1, vcc
	s_waitcnt lgkmcnt(0)
	v_cmp_lt_u64_e32 vcc, v[2:3], v[40:41]
	s_and_saveexec_b64 s[42:43], vcc
	s_cbranch_execz .LBB4_140
; %bb.132:                              ;   in Loop: Header=BB4_68 Depth=2
	s_mov_b32 s57, 0
	s_mov_b64 s[44:45], 0
                                        ; implicit-def: $sgpr46_sgpr47
                                        ; implicit-def: $sgpr48_sgpr49
	s_branch .LBB4_134
.LBB4_133:                              ;   in Loop: Header=BB4_134 Depth=3
	s_or_b64 exec, exec, s[52:53]
	s_and_b64 vcc, exec, vcc
	s_or_b64 s[44:45], vcc, s[44:45]
	s_andn2_b64 vcc, s[46:47], exec
	s_and_b64 s[46:47], s[48:49], exec
	s_or_b64 s[46:47], vcc, s[46:47]
	s_andn2_b64 exec, exec, s[44:45]
	s_cbranch_execz .LBB4_138
.LBB4_134:                              ;   Parent Loop BB4_21 Depth=1
                                        ;     Parent Loop BB4_68 Depth=2
                                        ; =>    This Inner Loop Header: Depth=3
	s_add_i32 s57, s57, 1
	s_cmpk_lg_i32 s57, 0x2710
	s_cselect_b64 s[50:51], -1, 0
	s_and_b64 vcc, exec, s[50:51]
                                        ; implicit-def: $sgpr52_sgpr53
	s_cbranch_vccnz .LBB4_136
; %bb.135:                              ;   in Loop: Header=BB4_134 Depth=3
	s_trap 2
	ds_read_b64 v[2:3], v0
	s_andn2_b64 s[50:51], s[50:51], exec
	s_mov_b32 s57, 0
	s_mov_b64 s[52:53], -1
	s_waitcnt lgkmcnt(0)
	flat_load_dword v1, v[2:3] glc
	s_waitcnt vmcnt(0) lgkmcnt(0)
	buffer_invl2
	buffer_wbinvl1_vol
	v_cmp_eq_u32_e32 vcc, 0, v1
	s_and_b64 vcc, vcc, exec
	s_or_b64 s[50:51], s[50:51], vcc
.LBB4_136:                              ;   in Loop: Header=BB4_134 Depth=3
	s_andn2_b64 s[48:49], s[48:49], exec
	s_and_b64 s[52:53], s[52:53], exec
	s_mov_b64 vcc, -1
	s_or_b64 s[48:49], s[48:49], s[52:53]
	s_and_saveexec_b64 s[52:53], s[50:51]
	s_cbranch_execz .LBB4_133
; %bb.137:                              ;   in Loop: Header=BB4_134 Depth=3
	s_sleep 1
	s_trap 2
	ds_read_b64 v[2:3], v0
	s_andn2_b64 s[48:49], s[48:49], exec
	s_waitcnt lgkmcnt(0)
	v_cmp_ge_u64_e32 vcc, v[2:3], v[40:41]
	s_orn2_b64 vcc, vcc, exec
	s_branch .LBB4_133
.LBB4_138:                              ;   in Loop: Header=BB4_68 Depth=2
	s_or_b64 exec, exec, s[44:45]
	s_and_saveexec_b64 vcc, s[46:47]
	s_xor_b64 vcc, exec, vcc
	s_cbranch_execz .LBB4_140
; %bb.139:                              ;   in Loop: Header=BB4_68 Depth=2
	v_mov_b32_e32 v1, 1
	ds_write_b32 v0, v1
	s_trap 2
.LBB4_140:                              ;   in Loop: Header=BB4_68 Depth=2
	s_or_b64 exec, exec, s[42:43]
	;;#ASMSTART
	s_wakeup
	;;#ASMEND
.LBB4_141:                              ;   in Loop: Header=BB4_68 Depth=2
	s_or_b64 exec, exec, s[40:41]
.LBB4_142:                              ;   in Loop: Header=BB4_68 Depth=2
	s_andn2_saveexec_b64 vcc, s[38:39]
	s_cbranch_execz .LBB4_144
; %bb.143:                              ;   in Loop: Header=BB4_68 Depth=2
	s_waitcnt vmcnt(0) lgkmcnt(0)
	buffer_wbinvl1_vol
	s_barrier
.LBB4_144:                              ;   in Loop: Header=BB4_68 Depth=2
	s_or_b64 exec, exec, vcc
	s_or_b64 exec, exec, s[20:21]
	s_and_saveexec_b64 s[20:21], s[14:15]
	s_cbranch_execnz .LBB4_73
	s_branch .LBB4_74
.LBB4_145:                              ;   in Loop: Header=BB4_21 Depth=1
	v_pk_mov_b32 v[16:17], v[10:11], v[10:11] op_sel:[0,1]
	s_and_saveexec_b64 s[38:39], s[18:19]
	s_cbranch_execnz .LBB4_147
	s_branch .LBB4_170
.LBB4_146:                              ;   in Loop: Header=BB4_21 Depth=1
	v_accvgpr_read_b32 v6, a36
	v_pk_mov_b32 v[16:17], v[10:11], v[10:11] op_sel:[0,1]
	v_accvgpr_read_b32 v7, a37
	s_and_saveexec_b64 s[38:39], s[18:19]
	s_cbranch_execz .LBB4_170
.LBB4_147:                              ;   in Loop: Header=BB4_21 Depth=1
	flat_load_dword v4, v[22:23]
	v_accvgpr_read_b32 v2, a8
	v_accvgpr_read_b32 v3, a9
	v_add_co_u32_e32 v5, vcc, v2, v6
	v_and_b32_e32 v2, 7, v34
	v_addc_co_u32_e32 v10, vcc, v3, v7, vcc
	v_accvgpr_read_b32 v0, a26
	v_mul_lo_u32 v2, v2, s54
	v_add_co_u32_e32 v0, vcc, v0, v6
	v_accvgpr_read_b32 v1, a27
	v_ashrrev_i32_e32 v3, 31, v2
	v_addc_co_u32_e32 v1, vcc, v1, v7, vcc
	v_lshlrev_b64 v[2:3], 4, v[2:3]
	v_accvgpr_read_b32 v8, a14
	v_accvgpr_read_b32 v9, a15
	v_add_co_u32_e32 v7, vcc, v8, v2
	v_addc_co_u32_e32 v21, vcc, v9, v3, vcc
	v_add_u32_e32 v6, 1, v34
	s_mov_b64 s[40:41], 0
                                        ; implicit-def: $vgpr46_vgpr47
	s_waitcnt vmcnt(0) lgkmcnt(0)
	v_ashrrev_i32_e32 v11, 31, v4
	v_mul_lo_u32 v18, v45, v4
	v_mad_u64_u32 v[2:3], s[18:19], v44, v4, 0
	v_mul_lo_u32 v4, v44, v11
	v_add3_u32 v3, v3, v4, v18
	v_lshlrev_b64 v[2:3], 2, v[2:3]
	v_add_co_u32_e32 v2, vcc, v5, v2
	v_addc_co_u32_e32 v3, vcc, v10, v3, vcc
	v_accvgpr_read_b32 v4, a24
	v_accvgpr_read_b32 v5, a25
	v_add_co_u32_e32 v10, vcc, v2, v4
	v_addc_co_u32_e32 v11, vcc, v3, v5, vcc
	v_mov_b32_e32 v18, v24
	s_branch .LBB4_149
.LBB4_148:                              ;   in Loop: Header=BB4_149 Depth=2
	v_add_co_u32_e32 v10, vcc, v10, v58
	v_addc_co_u32_e32 v11, vcc, v11, v59, vcc
	v_add_co_u32_e32 v0, vcc, v0, v58
	v_addc_co_u32_e32 v1, vcc, v1, v59, vcc
	v_sub_u32_e32 v32, v32, v60
	v_cmp_gt_i32_e32 vcc, 1, v32
	v_or_b32_e32 v47, 0, v47
	v_or_b32_e32 v46, v46, v56
	s_or_b64 s[40:41], vcc, s[40:41]
	v_add_u32_e32 v18, v18, v20
	s_andn2_b64 exec, exec, s[40:41]
	s_cbranch_execz .LBB4_169
.LBB4_149:                              ;   Parent Loop BB4_21 Depth=1
                                        ; =>  This Loop Header: Depth=2
                                        ;       Child Loop BB4_155 Depth 3
	global_load_dword v56, v[10:11], off glc slc
	v_cmp_ne_u32_e32 vcc, 1, v32
	s_and_saveexec_b64 s[18:19], vcc
	s_cbranch_execz .LBB4_151
; %bb.150:                              ;   in Loop: Header=BB4_149 Depth=2
	global_load_dword v43, v[10:11], off offset:4 glc slc
	s_waitcnt vmcnt(0)
	v_pk_mov_b32 v[46:47], v[42:43], v[42:43] op_sel:[0,1]
.LBB4_151:                              ;   in Loop: Header=BB4_149 Depth=2
	s_or_b64 exec, exec, s[18:19]
	v_ashrrev_i32_e32 v19, 31, v18
	v_lshlrev_b64 v[2:3], 4, v[18:19]
	v_add_co_u32_e64 v54, s[18:19], v7, v2
	v_addc_co_u32_e64 v55, s[18:19], v21, v3, s[18:19]
	global_load_dwordx4 v[2:5], v[54:55], off glc slc
	v_cmp_eq_u32_e64 s[18:19], 0, v62
	s_and_saveexec_b64 s[42:43], s[18:19]
	s_cbranch_execz .LBB4_163
; %bb.152:                              ;   in Loop: Header=BB4_149 Depth=2
	s_waitcnt vmcnt(0)
	v_cmp_ne_u32_e64 s[18:19], v6, v3
	v_cmp_ne_u32_e64 s[20:21], v6, v5
	s_or_b64 s[18:19], s[18:19], s[20:21]
	v_mov_b32_e32 v62, 0
	s_and_saveexec_b64 s[44:45], s[18:19]
	s_cbranch_execz .LBB4_162
; %bb.153:                              ;   in Loop: Header=BB4_149 Depth=2
	s_mov_b32 s50, 1
	s_mov_b64 s[46:47], 0
	v_mov_b32_e32 v62, 0
	s_branch .LBB4_155
.LBB4_154:                              ;   in Loop: Header=BB4_155 Depth=3
	s_or_b64 exec, exec, s[48:49]
	s_and_b64 s[18:19], exec, s[20:21]
	s_or_b64 s[46:47], s[18:19], s[46:47]
	s_andn2_b64 exec, exec, s[46:47]
	s_cbranch_execz .LBB4_161
.LBB4_155:                              ;   Parent Loop BB4_21 Depth=1
                                        ;     Parent Loop BB4_149 Depth=2
                                        ; =>    This Inner Loop Header: Depth=3
	global_load_dwordx4 v[2:5], v[54:55], off glc slc
	s_add_i32 s50, s50, 1
	s_cmpk_lg_i32 s50, 0x2710
	s_cbranch_scc1 .LBB4_159
; %bb.156:                              ;   in Loop: Header=BB4_155 Depth=3
	s_trap 2
	ds_read_b64 v[8:9], v0
	s_waitcnt vmcnt(0) lgkmcnt(0)
	flat_load_dword v19, v[8:9] glc
	s_waitcnt vmcnt(0) lgkmcnt(0)
	buffer_invl2
	buffer_wbinvl1_vol
	v_cmp_ne_u32_e64 s[18:19], 0, v19
	s_and_saveexec_b64 s[20:21], s[18:19]
	s_cbranch_execz .LBB4_158
; %bb.157:                              ;   in Loop: Header=BB4_155 Depth=3
	v_mov_b32_e32 v62, 1
	ds_write_b32 v0, v19
	s_trap 2
.LBB4_158:                              ;   in Loop: Header=BB4_155 Depth=3
	s_or_b64 exec, exec, s[20:21]
	s_mov_b32 s50, 0
	v_mov_b32_e32 v19, v62
	v_cmp_eq_u32_e64 s[18:19], 0, v19
	s_mov_b64 s[20:21], -1
	s_and_saveexec_b64 s[48:49], s[18:19]
	s_cbranch_execz .LBB4_154
	s_branch .LBB4_160
.LBB4_159:                              ;   in Loop: Header=BB4_155 Depth=3
	v_mov_b32_e32 v19, 0
	v_cmp_eq_u32_e64 s[18:19], 0, v19
	s_mov_b64 s[20:21], -1
	s_and_saveexec_b64 s[48:49], s[18:19]
	s_cbranch_execz .LBB4_154
.LBB4_160:                              ;   in Loop: Header=BB4_155 Depth=3
	s_waitcnt vmcnt(0)
	v_cmp_eq_u32_e64 s[18:19], v6, v3
	v_cmp_eq_u32_e64 s[20:21], v6, v5
	s_and_b64 s[18:19], s[18:19], s[20:21]
	s_orn2_b64 s[20:21], s[18:19], exec
	s_branch .LBB4_154
.LBB4_161:                              ;   in Loop: Header=BB4_149 Depth=2
	s_or_b64 exec, exec, s[46:47]
.LBB4_162:                              ;   in Loop: Header=BB4_149 Depth=2
	s_or_b64 exec, exec, s[44:45]
.LBB4_163:                              ;   in Loop: Header=BB4_149 Depth=2
	s_or_b64 exec, exec, s[42:43]
	s_waitcnt vmcnt(0)
	v_add_co_u32_e64 v2, s[18:19], v2, v56
	v_mov_b32_e32 v3, v4
	v_add_co_u32_e64 v4, s[18:19], 0, v46
	v_addc_co_u32_e64 v3, s[18:19], v3, v47, s[18:19]
	v_cmp_ne_u32_e64 s[18:19], 1, v32
	s_and_b64 s[18:19], s[16:17], s[18:19]
	v_cndmask_b32_e64 v4, 0, 1, s[18:19]
	;;#ASMSTART
	;;#ASMEND
	v_cmp_ne_u32_e64 s[18:19], 0, v4
	s_cmp_lg_u64 s[18:19], exec
	s_mov_b64 s[18:19], -1
	s_cbranch_scc0 .LBB4_167
; %bb.164:                              ;   in Loop: Header=BB4_149 Depth=2
	flat_store_dword v[0:1], v2
	s_and_saveexec_b64 s[18:19], vcc
	s_cbranch_execz .LBB4_166
; %bb.165:                              ;   in Loop: Header=BB4_149 Depth=2
	flat_store_dword v[0:1], v3 offset:4
.LBB4_166:                              ;   in Loop: Header=BB4_149 Depth=2
	s_or_b64 exec, exec, s[18:19]
	s_mov_b64 s[18:19], 0
.LBB4_167:                              ;   in Loop: Header=BB4_149 Depth=2
	s_andn2_b64 vcc, exec, s[18:19]
	s_cbranch_vccnz .LBB4_148
; %bb.168:                              ;   in Loop: Header=BB4_149 Depth=2
	global_store_dwordx2 v[0:1], v[2:3], off
	s_branch .LBB4_148
.LBB4_169:                              ;   in Loop: Header=BB4_21 Depth=1
	s_or_b64 exec, exec, s[40:41]
.LBB4_170:                              ;   in Loop: Header=BB4_21 Depth=1
	s_or_b64 exec, exec, s[38:39]
	v_accvgpr_read_b32 v5, a3
	v_accvgpr_read_b32 v9, a7
	v_accvgpr_read_b32 v10, a34
	v_accvgpr_read_b32 v4, a2
	v_accvgpr_read_b32 v8, a6
	v_accvgpr_read_b32 v11, a35
	s_and_saveexec_b64 s[18:19], s[10:11]
	s_cbranch_execz .LBB4_189
; %bb.171:                              ;   in Loop: Header=BB4_21 Depth=1
	s_and_saveexec_b64 s[20:21], s[30:31]
	s_xor_b64 s[20:21], exec, s[20:21]
	s_cbranch_execz .LBB4_186
; %bb.172:                              ;   in Loop: Header=BB4_21 Depth=1
	s_and_saveexec_b64 s[38:39], s[12:13]
	s_cbranch_execz .LBB4_185
; %bb.173:                              ;   in Loop: Header=BB4_21 Depth=1
	s_mov_b64 s[42:43], exec
	v_mbcnt_lo_u32_b32 v0, s42, 0
	v_mbcnt_hi_u32_b32 v0, s43, v0
	v_cmp_eq_u32_e32 vcc, 0, v0
	s_waitcnt vmcnt(0) lgkmcnt(0)
	buffer_wbinvl1_vol
	s_and_saveexec_b64 s[40:41], vcc
	s_cbranch_execz .LBB4_175
; %bb.174:                              ;   in Loop: Header=BB4_21 Depth=1
	s_bcnt1_i32_b64 vcc_lo, s[42:43]
	v_mov_b32_e32 v0, vcc_lo
	v_mov_b32_e32 v1, v42
	ds_add_u64 v0, v[0:1]
	s_trap 2
.LBB4_175:                              ;   in Loop: Header=BB4_21 Depth=1
	s_or_b64 exec, exec, s[40:41]
	s_trap 2
	ds_read_b64 v[0:1], v0
	v_accvgpr_read_b32 v2, a20
	v_add_co_u32_e32 v40, vcc, v40, v2
	v_accvgpr_read_b32 v3, a1
	v_addc_co_u32_e32 v41, vcc, v41, v3, vcc
	s_waitcnt lgkmcnt(0)
	v_cmp_lt_u64_e32 vcc, v[0:1], v[40:41]
	s_and_saveexec_b64 s[40:41], vcc
	s_cbranch_execz .LBB4_184
; %bb.176:                              ;   in Loop: Header=BB4_21 Depth=1
	s_mov_b32 s52, 0
	s_mov_b64 s[42:43], 0
                                        ; implicit-def: $sgpr44_sgpr45
                                        ; implicit-def: $sgpr46_sgpr47
	s_branch .LBB4_178
.LBB4_177:                              ;   in Loop: Header=BB4_178 Depth=2
	s_or_b64 exec, exec, s[50:51]
	s_and_b64 vcc, exec, vcc
	s_or_b64 s[42:43], vcc, s[42:43]
	s_andn2_b64 vcc, s[44:45], exec
	s_and_b64 s[44:45], s[46:47], exec
	s_or_b64 s[44:45], vcc, s[44:45]
	s_andn2_b64 exec, exec, s[42:43]
	s_cbranch_execz .LBB4_182
.LBB4_178:                              ;   Parent Loop BB4_21 Depth=1
                                        ; =>  This Inner Loop Header: Depth=2
	s_add_i32 s52, s52, 1
	s_cmpk_lg_i32 s52, 0x2710
	s_cselect_b64 s[48:49], -1, 0
	s_and_b64 vcc, exec, s[48:49]
                                        ; implicit-def: $sgpr50_sgpr51
	s_cbranch_vccnz .LBB4_180
; %bb.179:                              ;   in Loop: Header=BB4_178 Depth=2
	s_trap 2
	ds_read_b64 v[0:1], v0
	s_andn2_b64 s[48:49], s[48:49], exec
	s_mov_b32 s52, 0
	s_mov_b64 s[50:51], -1
	s_waitcnt lgkmcnt(0)
	flat_load_dword v0, v[0:1] glc
	s_waitcnt vmcnt(0) lgkmcnt(0)
	buffer_invl2
	buffer_wbinvl1_vol
	v_cmp_eq_u32_e32 vcc, 0, v0
	s_and_b64 vcc, vcc, exec
	s_or_b64 s[48:49], s[48:49], vcc
.LBB4_180:                              ;   in Loop: Header=BB4_178 Depth=2
	s_andn2_b64 s[46:47], s[46:47], exec
	s_and_b64 s[50:51], s[50:51], exec
	s_mov_b64 vcc, -1
	s_or_b64 s[46:47], s[46:47], s[50:51]
	s_and_saveexec_b64 s[50:51], s[48:49]
	s_cbranch_execz .LBB4_177
; %bb.181:                              ;   in Loop: Header=BB4_178 Depth=2
	s_sleep 1
	s_trap 2
	ds_read_b64 v[0:1], v0
	s_andn2_b64 s[46:47], s[46:47], exec
	s_waitcnt lgkmcnt(0)
	v_cmp_ge_u64_e32 vcc, v[0:1], v[40:41]
	s_orn2_b64 vcc, vcc, exec
	s_branch .LBB4_177
.LBB4_182:                              ;   in Loop: Header=BB4_21 Depth=1
	s_or_b64 exec, exec, s[42:43]
	s_and_saveexec_b64 vcc, s[44:45]
	s_xor_b64 vcc, exec, vcc
	s_cbranch_execz .LBB4_184
; %bb.183:                              ;   in Loop: Header=BB4_21 Depth=1
	v_mov_b32_e32 v0, 1
	ds_write_b32 v0, v0
	s_trap 2
.LBB4_184:                              ;   in Loop: Header=BB4_21 Depth=1
	s_or_b64 exec, exec, s[40:41]
	;;#ASMSTART
	s_wakeup
	;;#ASMEND
.LBB4_185:                              ;   in Loop: Header=BB4_21 Depth=1
	s_or_b64 exec, exec, s[38:39]
.LBB4_186:                              ;   in Loop: Header=BB4_21 Depth=1
	s_andn2_saveexec_b64 s[20:21], s[20:21]
	s_cbranch_execz .LBB4_188
; %bb.187:                              ;   in Loop: Header=BB4_21 Depth=1
	s_waitcnt vmcnt(0) lgkmcnt(0)
	buffer_wbinvl1_vol
	s_barrier
.LBB4_188:                              ;   in Loop: Header=BB4_21 Depth=1
	s_or_b64 exec, exec, s[20:21]
.LBB4_189:                              ;   in Loop: Header=BB4_21 Depth=1
	s_or_b64 exec, exec, s[18:19]
	s_and_saveexec_b64 s[18:19], s[14:15]
	s_cbranch_execz .LBB4_20
; %bb.190:                              ;   in Loop: Header=BB4_21 Depth=1
	v_add_co_u32_e32 v38, vcc, 1, v38
	v_accvgpr_read_b32 v0, a16
	v_addc_co_u32_e32 v39, vcc, 0, v39, vcc
	v_accvgpr_read_b32 v1, a17
	flat_store_dwordx2 v[0:1], v[38:39]
	s_branch .LBB4_20
.LBB4_191:
	s_or_b64 exec, exec, s[28:29]
	v_accvgpr_read_b32 v19, a11
	v_accvgpr_read_b32 v27, a13
	;; [unrolled: 1-line block ×5, first 2 shown]
.LBB4_192:
	s_or_b64 exec, exec, s[26:27]
; %bb.193:
	s_and_saveexec_b64 s[6:7], s[24:25]
	s_cbranch_execnz .LBB4_196
; %bb.194:
	s_or_b64 exec, exec, s[6:7]
	s_and_saveexec_b64 s[6:7], s[4:5]
	s_cbranch_execnz .LBB4_197
.LBB4_195:
	s_or_b64 exec, exec, s[6:7]
	v_cmp_ne_u32_e32 vcc, 64, v20
	s_and_saveexec_b64 s[4:5], vcc
	s_cbranch_execnz .LBB4_198
	s_branch .LBB4_215
.LBB4_196:
	s_waitcnt vmcnt(0) lgkmcnt(0)
	flat_store_dwordx2 v[26:27], v[38:39] offset:104
	s_or_b64 exec, exec, s[6:7]
	s_and_saveexec_b64 s[6:7], s[4:5]
	s_cbranch_execz .LBB4_195
.LBB4_197:
	s_waitcnt vmcnt(0) lgkmcnt(0)
	flat_store_dwordx2 v[18:19], v[14:15] offset:104
	s_or_b64 exec, exec, s[6:7]
	v_cmp_ne_u32_e32 vcc, 64, v20
	s_and_saveexec_b64 s[4:5], vcc
	s_cbranch_execz .LBB4_215
.LBB4_198:
	v_cmp_ne_u32_sdwa s[6:7], v11, v20 src0_sel:WORD_0 src1_sel:DWORD
	s_and_saveexec_b64 s[8:9], s[6:7]
	s_xor_b64 s[6:7], exec, s[8:9]
	s_cbranch_execz .LBB4_213
; %bb.199:
	v_and_b32_e32 v0, 63, v31
	v_cmp_eq_u32_e32 vcc, 0, v0
	s_and_saveexec_b64 s[8:9], vcc
	s_cbranch_execz .LBB4_212
; %bb.200:
	s_mov_b64 s[12:13], exec
	v_mbcnt_lo_u32_b32 v0, s12, 0
	v_mbcnt_hi_u32_b32 v0, s13, v0
	v_cmp_eq_u32_e32 vcc, 0, v0
	s_waitcnt vmcnt(0) lgkmcnt(0)
	buffer_wbinvl1_vol
	s_and_saveexec_b64 s[10:11], vcc
	s_cbranch_execz .LBB4_202
; %bb.201:
	s_bcnt1_i32_b64 s12, s[12:13]
	v_mov_b32_e32 v0, s12
	v_mov_b32_e32 v1, 0
	ds_add_u64 v0, v[0:1]
	s_trap 2
.LBB4_202:
	s_or_b64 exec, exec, s[10:11]
	v_ashrrev_i32_e32 v0, 31, v20
	v_lshrrev_b32_e32 v0, 26, v0
	v_add_u32_e32 v0, v20, v0
	v_ashrrev_i32_e32 v0, 6, v0
	s_trap 2
	ds_read_b64 v[2:3], v0
	v_ashrrev_i32_e32 v1, 31, v0
	v_add_co_u32_e32 v0, vcc, v40, v0
	v_addc_co_u32_e32 v1, vcc, v41, v1, vcc
	s_waitcnt lgkmcnt(0)
	v_cmp_lt_u64_e32 vcc, v[2:3], v[0:1]
	s_and_saveexec_b64 s[10:11], vcc
	s_cbranch_execz .LBB4_211
; %bb.203:
	s_mov_b32 s24, 0
	s_mov_b64 s[12:13], 0
                                        ; implicit-def: $sgpr14_sgpr15
                                        ; implicit-def: $sgpr16_sgpr17
	s_branch .LBB4_205
.LBB4_204:                              ;   in Loop: Header=BB4_205 Depth=1
	s_or_b64 exec, exec, s[22:23]
	s_and_b64 s[18:19], exec, s[20:21]
	s_or_b64 s[12:13], s[18:19], s[12:13]
	s_andn2_b64 s[14:15], s[14:15], exec
	s_and_b64 s[18:19], s[16:17], exec
	s_or_b64 s[14:15], s[14:15], s[18:19]
	s_andn2_b64 exec, exec, s[12:13]
	s_cbranch_execz .LBB4_209
.LBB4_205:                              ; =>This Inner Loop Header: Depth=1
	s_add_i32 s24, s24, 1
	s_cmpk_lg_i32 s24, 0x2710
	s_cselect_b64 s[18:19], -1, 0
	s_and_b64 vcc, exec, s[18:19]
                                        ; implicit-def: $sgpr22_sgpr23
	s_cbranch_vccnz .LBB4_207
; %bb.206:                              ;   in Loop: Header=BB4_205 Depth=1
	s_trap 2
	ds_read_b64 v[2:3], v0
	s_andn2_b64 s[18:19], s[18:19], exec
	s_mov_b32 s24, 0
	s_mov_b64 s[22:23], -1
	s_waitcnt lgkmcnt(0)
	flat_load_dword v2, v[2:3] glc
	s_waitcnt vmcnt(0) lgkmcnt(0)
	buffer_invl2
	buffer_wbinvl1_vol
	v_cmp_eq_u32_e32 vcc, 0, v2
	s_and_b64 s[20:21], vcc, exec
	s_or_b64 s[18:19], s[18:19], s[20:21]
.LBB4_207:                              ;   in Loop: Header=BB4_205 Depth=1
	s_andn2_b64 s[16:17], s[16:17], exec
	s_and_b64 s[22:23], s[22:23], exec
	s_mov_b64 s[20:21], -1
	s_or_b64 s[16:17], s[16:17], s[22:23]
	s_and_saveexec_b64 s[22:23], s[18:19]
	s_cbranch_execz .LBB4_204
; %bb.208:                              ;   in Loop: Header=BB4_205 Depth=1
	s_sleep 1
	s_trap 2
	ds_read_b64 v[2:3], v0
	s_andn2_b64 s[16:17], s[16:17], exec
	s_waitcnt lgkmcnt(0)
	v_cmp_ge_u64_e32 vcc, v[2:3], v[0:1]
	s_orn2_b64 s[20:21], vcc, exec
	s_branch .LBB4_204
.LBB4_209:
	s_or_b64 exec, exec, s[12:13]
	s_and_saveexec_b64 s[12:13], s[14:15]
	s_xor_b64 s[12:13], exec, s[12:13]
	s_cbranch_execz .LBB4_211
; %bb.210:
	v_mov_b32_e32 v0, 1
	ds_write_b32 v0, v0
	s_trap 2
.LBB4_211:
	s_or_b64 exec, exec, s[10:11]
	;;#ASMSTART
	s_wakeup
	;;#ASMEND
.LBB4_212:
	s_or_b64 exec, exec, s[8:9]
.LBB4_213:
	s_andn2_saveexec_b64 s[6:7], s[6:7]
	s_cbranch_execz .LBB4_215
; %bb.214:
	s_waitcnt vmcnt(0) lgkmcnt(0)
	buffer_wbinvl1_vol
	s_barrier
.LBB4_215:
	s_or_b64 exec, exec, s[4:5]
	buffer_load_dword a37, off, s[0:3], s32 ; 4-byte Folded Reload
	buffer_load_dword a36, off, s[0:3], s32 offset:4 ; 4-byte Folded Reload
	buffer_load_dword a35, off, s[0:3], s32 offset:8 ; 4-byte Folded Reload
	;; [unrolled: 1-line block ×20, first 2 shown]
	v_readlane_b32 s30, v63, 24
	v_readlane_b32 s31, v63, 25
	;; [unrolled: 1-line block ×26, first 2 shown]
	s_or_saveexec_b64 s[4:5], -1
	buffer_load_dword v63, off, s[0:3], s32 offset:84 ; 4-byte Folded Reload
	s_mov_b64 exec, s[4:5]
	s_waitcnt vmcnt(0) lgkmcnt(0)
	s_setpc_b64 s[30:31]
.Lfunc_end4:
	.size	_ZN12_GLOBAL__N_17runRingIj7FuncSumIjE7ProtoLLLi0ELi4ELi0EEEviiP15ncclDevWorkColl, .Lfunc_end4-_ZN12_GLOBAL__N_17runRingIj7FuncSumIjE7ProtoLLLi0ELi4ELi0EEEviiP15ncclDevWorkColl
                                        ; -- End function
	.section	.AMDGPU.csdata,"",@progbits
; Function info:
; codeLenInByte = 7996
; NumSgprs: 62
; NumVgprs: 64
; NumAgprs: 38
; TotalNumVgprs: 102
; ScratchSize: 92
; MemoryBound: 0
	.text
	.p2align	2                               ; -- Begin function _Z47ncclDevFunc_ReduceScatter_RING_LL_Sum_u32_0_0_4v
	.type	_Z47ncclDevFunc_ReduceScatter_RING_LL_Sum_u32_0_0_4v,@function
_Z47ncclDevFunc_ReduceScatter_RING_LL_Sum_u32_0_0_4v: ; @_Z47ncclDevFunc_ReduceScatter_RING_LL_Sum_u32_0_0_4v
; %bb.0:
	s_waitcnt vmcnt(0) expcnt(0) lgkmcnt(0)
	s_mov_b32 s4, s33
	s_mov_b32 s33, s32
	s_or_saveexec_b64 s[6:7], -1
	buffer_store_dword v42, off, s[0:3], s33 offset:12 ; 4-byte Folded Spill
	s_mov_b64 exec, s[6:7]
	v_writelane_b32 v42, s4, 34
	s_addk_i32 s32, 0x800
	buffer_store_dword v40, off, s[0:3], s33 offset:8 ; 4-byte Folded Spill
	buffer_store_dword v41, off, s[0:3], s33 offset:4 ; 4-byte Folded Spill
	buffer_store_dword v63, off, s[0:3], s33 ; 4-byte Folded Spill
	v_writelane_b32 v42, s34, 0
	v_writelane_b32 v42, s35, 1
	;; [unrolled: 1-line block ×34, first 2 shown]
	s_trap 2
	ds_read_b32 v0, v0
	s_mov_b32 s60, s12
	s_mov_b64 s[58:59], s[8:9]
	s_waitcnt lgkmcnt(0)
	v_cmp_gt_i32_e32 vcc, 1, v0
	s_cbranch_vccnz .LBB5_8
; %bb.1:
	s_mov_b32 s61, 0
	v_and_b32_e32 v40, 0x3ff, v31
	s_mov_b64 s[62:63], src_shared_base
	v_mov_b32_e32 v41, 6
	s_branch .LBB5_3
.LBB5_2:                                ;   in Loop: Header=BB5_3 Depth=1
	s_or_b64 exec, exec, s[64:65]
	s_trap 2
	ds_read_b32 v0, v0
	s_add_i32 s61, s61, 1
	s_waitcnt lgkmcnt(0)
	v_cmp_lt_i32_e32 vcc, s61, v0
	s_cbranch_vccz .LBB5_8
.LBB5_3:                                ; =>This Inner Loop Header: Depth=1
	s_trap 2
	ds_read_b32 v0, v0
	s_cmp_eq_u32 s61, 0
	s_cbranch_scc1 .LBB5_6
; %bb.4:                                ;   in Loop: Header=BB5_3 Depth=1
	s_trap 2
	s_waitcnt lgkmcnt(0)
	ds_read_b32 v1, v0
	s_waitcnt lgkmcnt(0)
	v_xor_b32_e32 v1, v1, v0
	v_and_b32_e32 v1, 0xff0000, v1
	v_cmp_eq_u32_e32 vcc, 0, v1
	s_cbranch_vccnz .LBB5_6
; %bb.5:                                ;   in Loop: Header=BB5_3 Depth=1
	s_barrier
	ds_read_b32 v0, v0
.LBB5_6:                                ;   in Loop: Header=BB5_3 Depth=1
	s_waitcnt lgkmcnt(0)
	v_lshlrev_b32_sdwa v1, v41, v0 dst_sel:DWORD dst_unused:UNUSED_PAD src0_sel:DWORD src1_sel:BYTE_2
	v_cmp_lt_u32_e32 vcc, v40, v1
	s_and_saveexec_b64 s[64:65], vcc
	s_cbranch_execz .LBB5_2
; %bb.7:                                ;   in Loop: Header=BB5_3 Depth=1
	s_mov_b64 s[8:9], s[58:59]
	s_mov_b32 s12, s60
	v_mov_b32_e32 v0, v40
	v_mov_b32_e32 v3, s63
	s_getpc_b64 s[4:5]
	s_add_u32 s4, s4, _ZN12_GLOBAL__N_17runRingIj7FuncSumIjE7ProtoLLLi0ELi4ELi0EEEviiP15ncclDevWorkColl@rel32@lo+4
	s_addc_u32 s5, s5, _ZN12_GLOBAL__N_17runRingIj7FuncSumIjE7ProtoLLLi0ELi4ELi0EEEviiP15ncclDevWorkColl@rel32@hi+12
	s_swappc_b64 s[30:31], s[4:5]
	s_branch .LBB5_2
.LBB5_8:
	buffer_load_dword v63, off, s[0:3], s33 ; 4-byte Folded Reload
	buffer_load_dword v41, off, s[0:3], s33 offset:4 ; 4-byte Folded Reload
	buffer_load_dword v40, off, s[0:3], s33 offset:8 ; 4-byte Folded Reload
	v_readlane_b32 s30, v42, 32
	v_readlane_b32 s31, v42, 33
	;; [unrolled: 1-line block ×35, first 2 shown]
	s_or_saveexec_b64 s[6:7], -1
	buffer_load_dword v42, off, s[0:3], s33 offset:12 ; 4-byte Folded Reload
	s_mov_b64 exec, s[6:7]
	s_addk_i32 s32, 0xf800
	s_mov_b32 s33, s4
	s_waitcnt vmcnt(0)
	s_setpc_b64 s[30:31]
.Lfunc_end5:
	.size	_Z47ncclDevFunc_ReduceScatter_RING_LL_Sum_u32_0_0_4v, .Lfunc_end5-_Z47ncclDevFunc_ReduceScatter_RING_LL_Sum_u32_0_0_4v
                                        ; -- End function
	.section	.AMDGPU.csdata,"",@progbits
; Function info:
; codeLenInByte = 900
; NumSgprs: 70
; NumVgprs: 64
; NumAgprs: 38
; TotalNumVgprs: 102
; ScratchSize: 124
; MemoryBound: 0
	.text
	.p2alignl 6, 3212836864
	.fill 256, 4, 3212836864
	.type	__hip_cuid_592765b0d9969b48,@object ; @__hip_cuid_592765b0d9969b48
	.section	.bss,"aw",@nobits
	.globl	__hip_cuid_592765b0d9969b48
__hip_cuid_592765b0d9969b48:
	.byte	0                               ; 0x0
	.size	__hip_cuid_592765b0d9969b48, 1

	.ident	"AMD clang version 19.0.0git (https://github.com/RadeonOpenCompute/llvm-project roc-6.4.0 25133 c7fe45cf4b819c5991fe208aaa96edf142730f1d)"
	.section	".note.GNU-stack","",@progbits
	.addrsig
	.addrsig_sym _Z47ncclDevFunc_ReduceScatter_RING_LL_Sum_u32_0_0_1v
	.addrsig_sym _Z47ncclDevFunc_ReduceScatter_RING_LL_Sum_u32_0_0_2v
	.addrsig_sym _Z47ncclDevFunc_ReduceScatter_RING_LL_Sum_u32_0_0_4v
	.addrsig_sym ncclShmem
	.addrsig_sym __hip_cuid_592765b0d9969b48
	.amdgpu_metadata
---
amdhsa.kernels:  []
amdhsa.target:   amdgcn-amd-amdhsa--gfx90a
amdhsa.version:
  - 1
  - 2
...

	.end_amdgpu_metadata
